;; amdgpu-corpus repo=ROCm/rocFFT kind=compiled arch=gfx906 opt=O3
	.text
	.amdgcn_target "amdgcn-amd-amdhsa--gfx906"
	.amdhsa_code_object_version 6
	.protected	fft_rtc_fwd_len2028_factors_13_4_3_13_wgs_156_tpt_156_sp_ip_CI_unitstride_sbrr_C2R_dirReg ; -- Begin function fft_rtc_fwd_len2028_factors_13_4_3_13_wgs_156_tpt_156_sp_ip_CI_unitstride_sbrr_C2R_dirReg
	.globl	fft_rtc_fwd_len2028_factors_13_4_3_13_wgs_156_tpt_156_sp_ip_CI_unitstride_sbrr_C2R_dirReg
	.p2align	8
	.type	fft_rtc_fwd_len2028_factors_13_4_3_13_wgs_156_tpt_156_sp_ip_CI_unitstride_sbrr_C2R_dirReg,@function
fft_rtc_fwd_len2028_factors_13_4_3_13_wgs_156_tpt_156_sp_ip_CI_unitstride_sbrr_C2R_dirReg: ; @fft_rtc_fwd_len2028_factors_13_4_3_13_wgs_156_tpt_156_sp_ip_CI_unitstride_sbrr_C2R_dirReg
; %bb.0:
	s_load_dwordx2 s[2:3], s[4:5], 0x50
	s_load_dwordx4 s[8:11], s[4:5], 0x0
	s_load_dwordx2 s[12:13], s[4:5], 0x18
	v_mul_u32_u24_e32 v1, 0x1a5, v0
	v_add_u32_sdwa v5, s6, v1 dst_sel:DWORD dst_unused:UNUSED_PAD src0_sel:DWORD src1_sel:WORD_1
	v_mov_b32_e32 v3, 0
	s_waitcnt lgkmcnt(0)
	v_cmp_lt_u64_e64 s[0:1], s[10:11], 2
	v_mov_b32_e32 v1, 0
	v_mov_b32_e32 v6, v3
	s_and_b64 vcc, exec, s[0:1]
	v_mov_b32_e32 v2, 0
	s_cbranch_vccnz .LBB0_8
; %bb.1:
	s_load_dwordx2 s[0:1], s[4:5], 0x10
	s_add_u32 s6, s12, 8
	s_addc_u32 s7, s13, 0
	v_mov_b32_e32 v1, 0
	v_mov_b32_e32 v2, 0
	s_waitcnt lgkmcnt(0)
	s_add_u32 s14, s0, 8
	s_addc_u32 s15, s1, 0
	s_mov_b64 s[16:17], 1
.LBB0_2:                                ; =>This Inner Loop Header: Depth=1
	s_load_dwordx2 s[18:19], s[14:15], 0x0
                                        ; implicit-def: $vgpr7_vgpr8
	s_waitcnt lgkmcnt(0)
	v_or_b32_e32 v4, s19, v6
	v_cmp_ne_u64_e32 vcc, 0, v[3:4]
	s_and_saveexec_b64 s[0:1], vcc
	s_xor_b64 s[20:21], exec, s[0:1]
	s_cbranch_execz .LBB0_4
; %bb.3:                                ;   in Loop: Header=BB0_2 Depth=1
	v_cvt_f32_u32_e32 v4, s18
	v_cvt_f32_u32_e32 v7, s19
	s_sub_u32 s0, 0, s18
	s_subb_u32 s1, 0, s19
	v_mac_f32_e32 v4, 0x4f800000, v7
	v_rcp_f32_e32 v4, v4
	v_mul_f32_e32 v4, 0x5f7ffffc, v4
	v_mul_f32_e32 v7, 0x2f800000, v4
	v_trunc_f32_e32 v7, v7
	v_mac_f32_e32 v4, 0xcf800000, v7
	v_cvt_u32_f32_e32 v7, v7
	v_cvt_u32_f32_e32 v4, v4
	v_mul_lo_u32 v8, s0, v7
	v_mul_hi_u32 v9, s0, v4
	v_mul_lo_u32 v11, s1, v4
	v_mul_lo_u32 v10, s0, v4
	v_add_u32_e32 v8, v9, v8
	v_add_u32_e32 v8, v8, v11
	v_mul_hi_u32 v9, v4, v10
	v_mul_lo_u32 v11, v4, v8
	v_mul_hi_u32 v13, v4, v8
	v_mul_hi_u32 v12, v7, v10
	v_mul_lo_u32 v10, v7, v10
	v_mul_hi_u32 v14, v7, v8
	v_add_co_u32_e32 v9, vcc, v9, v11
	v_addc_co_u32_e32 v11, vcc, 0, v13, vcc
	v_mul_lo_u32 v8, v7, v8
	v_add_co_u32_e32 v9, vcc, v9, v10
	v_addc_co_u32_e32 v9, vcc, v11, v12, vcc
	v_addc_co_u32_e32 v10, vcc, 0, v14, vcc
	v_add_co_u32_e32 v8, vcc, v9, v8
	v_addc_co_u32_e32 v9, vcc, 0, v10, vcc
	v_add_co_u32_e32 v4, vcc, v4, v8
	v_addc_co_u32_e32 v7, vcc, v7, v9, vcc
	v_mul_lo_u32 v8, s0, v7
	v_mul_hi_u32 v9, s0, v4
	v_mul_lo_u32 v10, s1, v4
	v_mul_lo_u32 v11, s0, v4
	v_add_u32_e32 v8, v9, v8
	v_add_u32_e32 v8, v8, v10
	v_mul_lo_u32 v12, v4, v8
	v_mul_hi_u32 v13, v4, v11
	v_mul_hi_u32 v14, v4, v8
	;; [unrolled: 1-line block ×3, first 2 shown]
	v_mul_lo_u32 v11, v7, v11
	v_mul_hi_u32 v9, v7, v8
	v_add_co_u32_e32 v12, vcc, v13, v12
	v_addc_co_u32_e32 v13, vcc, 0, v14, vcc
	v_mul_lo_u32 v8, v7, v8
	v_add_co_u32_e32 v11, vcc, v12, v11
	v_addc_co_u32_e32 v10, vcc, v13, v10, vcc
	v_addc_co_u32_e32 v9, vcc, 0, v9, vcc
	v_add_co_u32_e32 v8, vcc, v10, v8
	v_addc_co_u32_e32 v9, vcc, 0, v9, vcc
	v_add_co_u32_e32 v4, vcc, v4, v8
	v_addc_co_u32_e32 v9, vcc, v7, v9, vcc
	v_mad_u64_u32 v[7:8], s[0:1], v5, v9, 0
	v_mul_hi_u32 v10, v5, v4
	v_add_co_u32_e32 v11, vcc, v10, v7
	v_addc_co_u32_e32 v12, vcc, 0, v8, vcc
	v_mad_u64_u32 v[7:8], s[0:1], v6, v4, 0
	v_mad_u64_u32 v[9:10], s[0:1], v6, v9, 0
	v_add_co_u32_e32 v4, vcc, v11, v7
	v_addc_co_u32_e32 v4, vcc, v12, v8, vcc
	v_addc_co_u32_e32 v7, vcc, 0, v10, vcc
	v_add_co_u32_e32 v4, vcc, v4, v9
	v_addc_co_u32_e32 v9, vcc, 0, v7, vcc
	v_mul_lo_u32 v10, s19, v4
	v_mul_lo_u32 v11, s18, v9
	v_mad_u64_u32 v[7:8], s[0:1], s18, v4, 0
	v_add3_u32 v8, v8, v11, v10
	v_sub_u32_e32 v10, v6, v8
	v_mov_b32_e32 v11, s19
	v_sub_co_u32_e32 v7, vcc, v5, v7
	v_subb_co_u32_e64 v10, s[0:1], v10, v11, vcc
	v_subrev_co_u32_e64 v11, s[0:1], s18, v7
	v_subbrev_co_u32_e64 v10, s[0:1], 0, v10, s[0:1]
	v_cmp_le_u32_e64 s[0:1], s19, v10
	v_cndmask_b32_e64 v12, 0, -1, s[0:1]
	v_cmp_le_u32_e64 s[0:1], s18, v11
	v_cndmask_b32_e64 v11, 0, -1, s[0:1]
	v_cmp_eq_u32_e64 s[0:1], s19, v10
	v_cndmask_b32_e64 v10, v12, v11, s[0:1]
	v_add_co_u32_e64 v11, s[0:1], 2, v4
	v_addc_co_u32_e64 v12, s[0:1], 0, v9, s[0:1]
	v_add_co_u32_e64 v13, s[0:1], 1, v4
	v_addc_co_u32_e64 v14, s[0:1], 0, v9, s[0:1]
	v_subb_co_u32_e32 v8, vcc, v6, v8, vcc
	v_cmp_ne_u32_e64 s[0:1], 0, v10
	v_cmp_le_u32_e32 vcc, s19, v8
	v_cndmask_b32_e64 v10, v14, v12, s[0:1]
	v_cndmask_b32_e64 v12, 0, -1, vcc
	v_cmp_le_u32_e32 vcc, s18, v7
	v_cndmask_b32_e64 v7, 0, -1, vcc
	v_cmp_eq_u32_e32 vcc, s19, v8
	v_cndmask_b32_e32 v7, v12, v7, vcc
	v_cmp_ne_u32_e32 vcc, 0, v7
	v_cndmask_b32_e64 v7, v13, v11, s[0:1]
	v_cndmask_b32_e32 v8, v9, v10, vcc
	v_cndmask_b32_e32 v7, v4, v7, vcc
.LBB0_4:                                ;   in Loop: Header=BB0_2 Depth=1
	s_andn2_saveexec_b64 s[0:1], s[20:21]
	s_cbranch_execz .LBB0_6
; %bb.5:                                ;   in Loop: Header=BB0_2 Depth=1
	v_cvt_f32_u32_e32 v4, s18
	s_sub_i32 s20, 0, s18
	v_rcp_iflag_f32_e32 v4, v4
	v_mul_f32_e32 v4, 0x4f7ffffe, v4
	v_cvt_u32_f32_e32 v4, v4
	v_mul_lo_u32 v7, s20, v4
	v_mul_hi_u32 v7, v4, v7
	v_add_u32_e32 v4, v4, v7
	v_mul_hi_u32 v4, v5, v4
	v_mul_lo_u32 v7, v4, s18
	v_add_u32_e32 v8, 1, v4
	v_sub_u32_e32 v7, v5, v7
	v_subrev_u32_e32 v9, s18, v7
	v_cmp_le_u32_e32 vcc, s18, v7
	v_cndmask_b32_e32 v7, v7, v9, vcc
	v_cndmask_b32_e32 v4, v4, v8, vcc
	v_add_u32_e32 v8, 1, v4
	v_cmp_le_u32_e32 vcc, s18, v7
	v_cndmask_b32_e32 v7, v4, v8, vcc
	v_mov_b32_e32 v8, v3
.LBB0_6:                                ;   in Loop: Header=BB0_2 Depth=1
	s_or_b64 exec, exec, s[0:1]
	v_mul_lo_u32 v4, v8, s18
	v_mul_lo_u32 v11, v7, s19
	v_mad_u64_u32 v[9:10], s[0:1], v7, s18, 0
	s_load_dwordx2 s[0:1], s[6:7], 0x0
	s_add_u32 s16, s16, 1
	v_add3_u32 v4, v10, v11, v4
	v_sub_co_u32_e32 v5, vcc, v5, v9
	v_subb_co_u32_e32 v4, vcc, v6, v4, vcc
	s_waitcnt lgkmcnt(0)
	v_mul_lo_u32 v4, s0, v4
	v_mul_lo_u32 v6, s1, v5
	v_mad_u64_u32 v[1:2], s[0:1], s0, v5, v[1:2]
	s_addc_u32 s17, s17, 0
	s_add_u32 s6, s6, 8
	v_add3_u32 v2, v6, v2, v4
	v_mov_b32_e32 v4, s10
	v_mov_b32_e32 v5, s11
	s_addc_u32 s7, s7, 0
	v_cmp_ge_u64_e32 vcc, s[16:17], v[4:5]
	s_add_u32 s14, s14, 8
	s_addc_u32 s15, s15, 0
	s_cbranch_vccnz .LBB0_9
; %bb.7:                                ;   in Loop: Header=BB0_2 Depth=1
	v_mov_b32_e32 v5, v7
	v_mov_b32_e32 v6, v8
	s_branch .LBB0_2
.LBB0_8:
	v_mov_b32_e32 v8, v6
	v_mov_b32_e32 v7, v5
.LBB0_9:
	s_lshl_b64 s[0:1], s[10:11], 3
	s_add_u32 s0, s12, s0
	s_addc_u32 s1, s13, s1
	s_load_dwordx2 s[6:7], s[0:1], 0x0
	s_load_dwordx2 s[10:11], s[4:5], 0x20
	s_waitcnt lgkmcnt(0)
	v_mad_u64_u32 v[1:2], s[0:1], s6, v7, v[1:2]
	v_mul_lo_u32 v3, s6, v8
	v_mul_lo_u32 v4, s7, v7
	s_mov_b32 s0, 0x1a41a42
	v_mul_hi_u32 v5, v0, s0
	v_cmp_gt_u64_e64 s[0:1], s[10:11], v[7:8]
	v_add3_u32 v2, v4, v2, v3
	v_lshlrev_b64 v[26:27], 3, v[1:2]
	v_mul_u32_u24_e32 v3, 0x9c, v5
	v_sub_u32_e32 v24, v0, v3
	s_and_saveexec_b64 s[4:5], s[0:1]
	s_cbranch_execz .LBB0_13
; %bb.10:
	v_mov_b32_e32 v25, 0
	v_mov_b32_e32 v0, s3
	v_add_co_u32_e32 v1, vcc, s2, v26
	v_lshlrev_b64 v[2:3], 3, v[24:25]
	v_addc_co_u32_e32 v0, vcc, v0, v27, vcc
	v_add_co_u32_e32 v2, vcc, v1, v2
	v_addc_co_u32_e32 v3, vcc, v0, v3, vcc
	s_movk_i32 s6, 0x1000
	v_add_co_u32_e32 v6, vcc, s6, v2
	v_addc_co_u32_e32 v7, vcc, 0, v3, vcc
	s_movk_i32 s6, 0x2000
	v_add_co_u32_e32 v8, vcc, s6, v2
	v_addc_co_u32_e32 v9, vcc, 0, v3, vcc
	global_load_dwordx2 v[4:5], v[2:3], off offset:3744
	global_load_dwordx2 v[10:11], v[6:7], off offset:896
	;; [unrolled: 1-line block ×5, first 2 shown]
	v_add_co_u32_e32 v6, vcc, 0x3000, v2
	v_addc_co_u32_e32 v7, vcc, 0, v3, vcc
	global_load_dwordx2 v[18:19], v[2:3], off
	global_load_dwordx2 v[20:21], v[2:3], off offset:2496
	global_load_dwordx2 v[22:23], v[2:3], off offset:1248
	global_load_dwordx2 v[28:29], v[8:9], off offset:1792
	global_load_dwordx2 v[30:31], v[8:9], off offset:3040
	global_load_dwordx2 v[32:33], v[6:7], off offset:192
	global_load_dwordx2 v[34:35], v[6:7], off offset:1440
	global_load_dwordx2 v[36:37], v[6:7], off offset:2688
	v_lshl_add_u32 v2, v24, 3, 0
	s_movk_i32 s6, 0x9b
	v_add_u32_e32 v3, 0x800, v2
	v_cmp_eq_u32_e32 vcc, s6, v24
	v_add_u32_e32 v6, 0x1200, v2
	v_add_u32_e32 v7, 0x1c00, v2
	;; [unrolled: 1-line block ×4, first 2 shown]
	s_waitcnt vmcnt(6)
	ds_write2_b64 v3, v[20:21], v[4:5] offset0:56 offset1:212
	s_waitcnt vmcnt(5)
	ds_write2_b64 v2, v[18:19], v[22:23] offset1:156
	ds_write2_b64 v6, v[10:11], v[12:13] offset0:48 offset1:204
	ds_write2_b64 v7, v[14:15], v[16:17] offset0:40 offset1:196
	s_waitcnt vmcnt(3)
	ds_write2_b64 v8, v[28:29], v[30:31] offset0:96 offset1:252
	s_waitcnt vmcnt(1)
	;; [unrolled: 2-line block ×3, first 2 shown]
	ds_write_b64 v2, v[36:37] offset:14976
	s_and_saveexec_b64 s[6:7], vcc
	s_cbranch_execz .LBB0_12
; %bb.11:
	v_add_co_u32_e32 v1, vcc, 0x3000, v1
	v_addc_co_u32_e32 v2, vcc, 0, v0, vcc
	global_load_dwordx2 v[0:1], v[1:2], off offset:3936
	v_mov_b32_e32 v24, 0x9b
	s_waitcnt vmcnt(0)
	ds_write_b64 v25, v[0:1] offset:16224
.LBB0_12:
	s_or_b64 exec, exec, s[6:7]
.LBB0_13:
	s_or_b64 exec, exec, s[4:5]
	v_lshlrev_b32_e32 v0, 3, v24
	v_add_u32_e32 v36, 0, v0
	s_waitcnt lgkmcnt(0)
	s_barrier
	v_sub_u32_e32 v4, 0, v0
	ds_read_b32 v5, v36
	ds_read_b32 v6, v4 offset:16224
	s_add_u32 s6, s8, 0x3ef8
	s_addc_u32 s7, s9, 0
	v_cmp_ne_u32_e32 vcc, 0, v24
                                        ; implicit-def: $vgpr0_vgpr1
	s_waitcnt lgkmcnt(0)
	v_add_f32_e32 v2, v6, v5
	v_sub_f32_e32 v3, v5, v6
	s_and_saveexec_b64 s[4:5], vcc
	s_xor_b64 s[4:5], exec, s[4:5]
	s_cbranch_execz .LBB0_15
; %bb.14:
	v_mov_b32_e32 v25, 0
	v_lshlrev_b64 v[0:1], 3, v[24:25]
	v_mov_b32_e32 v2, s7
	v_add_co_u32_e32 v0, vcc, s6, v0
	v_addc_co_u32_e32 v1, vcc, v2, v1, vcc
	global_load_dwordx2 v[0:1], v[0:1], off
	ds_read_b32 v2, v4 offset:16228
	ds_read_b32 v3, v36 offset:4
	v_add_f32_e32 v7, v6, v5
	v_sub_f32_e32 v8, v5, v6
	s_waitcnt lgkmcnt(0)
	v_add_f32_e32 v9, v2, v3
	v_sub_f32_e32 v2, v3, v2
	s_waitcnt vmcnt(0)
	v_fma_f32 v10, v8, v1, v7
	v_fma_f32 v3, v9, v1, v2
	v_fma_f32 v5, -v8, v1, v7
	v_fma_f32 v6, v9, v1, -v2
	v_fma_f32 v2, -v0, v9, v10
	v_fmac_f32_e32 v3, v8, v0
	v_fmac_f32_e32 v5, v0, v9
	;; [unrolled: 1-line block ×3, first 2 shown]
	v_mov_b32_e32 v0, v24
	ds_write_b64 v4, v[5:6] offset:16224
	v_mov_b32_e32 v1, v25
.LBB0_15:
	s_andn2_saveexec_b64 s[4:5], s[4:5]
	s_cbranch_execz .LBB0_17
; %bb.16:
	v_mov_b32_e32 v7, 0
	ds_read_b64 v[0:1], v7 offset:8112
	s_waitcnt lgkmcnt(0)
	v_add_f32_e32 v5, v0, v0
	v_mul_f32_e32 v6, -2.0, v1
	v_mov_b32_e32 v0, 0
	v_mov_b32_e32 v1, 0
	ds_write_b64 v7, v[5:6] offset:8112
.LBB0_17:
	s_or_b64 exec, exec, s[4:5]
	v_lshlrev_b64 v[0:1], 3, v[0:1]
	v_mov_b32_e32 v5, s7
	v_add_co_u32_e32 v0, vcc, s6, v0
	v_addc_co_u32_e32 v1, vcc, v5, v1, vcc
	global_load_dwordx2 v[5:6], v[0:1], off offset:1248
	global_load_dwordx2 v[7:8], v[0:1], off offset:2496
	global_load_dwordx2 v[9:10], v[0:1], off offset:3744
	s_movk_i32 s4, 0x1000
	v_add_co_u32_e32 v11, vcc, s4, v0
	v_addc_co_u32_e32 v12, vcc, 0, v1, vcc
	global_load_dwordx2 v[13:14], v[11:12], off offset:896
	ds_write_b64 v36, v[2:3]
	ds_read_b64 v[2:3], v36 offset:1248
	ds_read_b64 v[15:16], v4 offset:14976
	global_load_dwordx2 v[11:12], v[11:12], off offset:2144
	s_movk_i32 s4, 0x4e
	v_cmp_gt_u32_e32 vcc, s4, v24
	s_waitcnt lgkmcnt(0)
	v_add_f32_e32 v17, v2, v15
	v_add_f32_e32 v18, v16, v3
	v_sub_f32_e32 v19, v2, v15
	v_sub_f32_e32 v15, v3, v16
	s_waitcnt vmcnt(4)
	v_fma_f32 v20, v19, v6, v17
	v_fma_f32 v16, v18, v6, v15
	v_fma_f32 v2, -v19, v6, v17
	v_fma_f32 v3, v18, v6, -v15
	v_fma_f32 v15, -v5, v18, v20
	v_fmac_f32_e32 v16, v19, v5
	v_fmac_f32_e32 v2, v5, v18
	v_fmac_f32_e32 v3, v19, v5
	ds_write_b64 v36, v[15:16] offset:1248
	ds_write_b64 v4, v[2:3] offset:14976
	ds_read_b64 v[2:3], v36 offset:2496
	ds_read_b64 v[5:6], v4 offset:13728
	s_waitcnt lgkmcnt(0)
	v_add_f32_e32 v15, v2, v5
	v_add_f32_e32 v16, v6, v3
	v_sub_f32_e32 v17, v2, v5
	v_sub_f32_e32 v5, v3, v6
	s_waitcnt vmcnt(3)
	v_fma_f32 v18, v17, v8, v15
	v_fma_f32 v6, v16, v8, v5
	v_fma_f32 v2, -v17, v8, v15
	v_fma_f32 v3, v16, v8, -v5
	v_fma_f32 v5, -v7, v16, v18
	v_fmac_f32_e32 v6, v17, v7
	v_fmac_f32_e32 v2, v7, v16
	v_fmac_f32_e32 v3, v17, v7
	ds_write_b64 v36, v[5:6] offset:2496
	ds_write_b64 v4, v[2:3] offset:13728
	ds_read_b64 v[2:3], v36 offset:3744
	ds_read_b64 v[5:6], v4 offset:12480
	;; [unrolled: 18-line block ×4, first 2 shown]
	s_waitcnt lgkmcnt(0)
	v_add_f32_e32 v7, v2, v5
	v_add_f32_e32 v8, v6, v3
	v_sub_f32_e32 v9, v2, v5
	v_sub_f32_e32 v2, v3, v6
	s_waitcnt vmcnt(0)
	v_fma_f32 v10, v9, v12, v7
	v_fma_f32 v3, v8, v12, v2
	v_fma_f32 v5, -v9, v12, v7
	v_fma_f32 v6, v8, v12, -v2
	v_fma_f32 v2, -v11, v8, v10
	v_fmac_f32_e32 v3, v9, v11
	v_fmac_f32_e32 v5, v11, v8
	;; [unrolled: 1-line block ×3, first 2 shown]
	ds_write_b64 v36, v[2:3] offset:6240
	ds_write_b64 v4, v[5:6] offset:9984
	s_and_saveexec_b64 s[4:5], vcc
	s_cbranch_execz .LBB0_19
; %bb.18:
	v_add_co_u32_e32 v0, vcc, 0x1000, v0
	v_addc_co_u32_e32 v1, vcc, 0, v1, vcc
	global_load_dwordx2 v[0:1], v[0:1], off offset:3392
	ds_read_b64 v[2:3], v36 offset:7488
	ds_read_b64 v[5:6], v4 offset:8736
	s_waitcnt lgkmcnt(0)
	v_add_f32_e32 v7, v2, v5
	v_add_f32_e32 v8, v6, v3
	v_sub_f32_e32 v9, v2, v5
	v_sub_f32_e32 v3, v3, v6
	s_waitcnt vmcnt(0)
	v_fma_f32 v10, v9, v1, v7
	v_fma_f32 v2, v8, v1, v3
	v_fma_f32 v5, -v9, v1, v7
	v_fma_f32 v6, v8, v1, -v3
	v_fma_f32 v1, -v0, v8, v10
	v_fmac_f32_e32 v2, v9, v0
	v_fmac_f32_e32 v5, v0, v8
	;; [unrolled: 1-line block ×3, first 2 shown]
	ds_write_b64 v36, v[1:2] offset:7488
	ds_write_b64 v4, v[5:6] offset:8736
.LBB0_19:
	s_or_b64 exec, exec, s[4:5]
	s_waitcnt lgkmcnt(0)
	s_barrier
	s_barrier
	ds_read2_b64 v[4:7], v36 offset1:156
	v_add_u32_e32 v25, 0x800, v36
	ds_read2_b64 v[8:11], v25 offset0:56 offset1:212
	v_add_u32_e32 v0, 0x1200, v36
	ds_read2_b64 v[16:19], v0 offset0:48 offset1:204
	;; [unrolled: 2-line block ×3, first 2 shown]
	s_waitcnt lgkmcnt(3)
	v_add_f32_e32 v29, v5, v7
	v_add_u32_e32 v12, 0x2400, v36
	v_add_f32_e32 v28, v4, v6
	s_waitcnt lgkmcnt(2)
	v_add_f32_e32 v29, v29, v9
	ds_read2_b64 v[20:23], v12 offset0:96 offset1:252
	v_add_f32_e32 v28, v28, v8
	v_add_f32_e32 v29, v29, v11
	v_add_u32_e32 v12, 0x3000, v36
	v_add_f32_e32 v28, v28, v10
	s_waitcnt lgkmcnt(2)
	v_add_f32_e32 v29, v29, v17
	ds_read2_b64 v[12:15], v12 offset0:24 offset1:180
	v_add_f32_e32 v28, v28, v16
	v_add_f32_e32 v29, v29, v19
	;; [unrolled: 1-line block ×3, first 2 shown]
	s_waitcnt lgkmcnt(2)
	v_add_f32_e32 v29, v29, v1
	ds_read_b64 v[34:35], v36 offset:14976
	v_add_f32_e32 v28, v28, v0
	v_add_f32_e32 v29, v29, v3
	;; [unrolled: 1-line block ×3, first 2 shown]
	s_waitcnt lgkmcnt(2)
	v_add_f32_e32 v29, v29, v21
	v_add_f32_e32 v28, v28, v20
	;; [unrolled: 1-line block ×5, first 2 shown]
	v_sub_f32_e32 v16, v16, v22
	v_add_f32_e32 v22, v21, v19
	v_sub_f32_e32 v19, v19, v21
	s_waitcnt lgkmcnt(1)
	v_add_f32_e32 v21, v14, v8
	v_sub_f32_e32 v32, v8, v14
	v_add_f32_e32 v8, v13, v11
	v_sub_f32_e32 v11, v11, v13
	v_add_f32_e32 v13, v29, v13
	v_add_f32_e32 v30, v23, v17
	v_sub_f32_e32 v17, v17, v23
	v_add_f32_e32 v23, v20, v18
	v_sub_f32_e32 v18, v18, v20
	;; [unrolled: 2-line block ×4, first 2 shown]
	v_add_f32_e32 v12, v28, v12
	v_add_f32_e32 v29, v13, v15
	s_waitcnt lgkmcnt(0)
	v_sub_f32_e32 v13, v7, v35
	v_add_f32_e32 v28, v12, v14
	v_add_f32_e32 v12, v34, v6
	v_mul_f32_e32 v14, 0xbeedf032, v13
	s_mov_b32 s6, 0x3f62ad3f
	v_mul_f32_e32 v37, 0xbf52af12, v13
	s_mov_b32 s7, 0x3f116cb1
	s_mov_b32 s4, 0x3df6dbef
	v_mul_f32_e32 v39, 0xbf7e222b, v13
	s_mov_b32 s5, 0xbeb58ec6
	v_mul_f32_e32 v41, 0xbf6f5d39, v13
	;; [unrolled: 2-line block ×3, first 2 shown]
	v_mul_f32_e32 v45, 0xbe750f2a, v13
	s_mov_b32 s11, 0xbf788fa5
	v_sub_f32_e32 v6, v6, v34
	v_fma_f32 v15, v12, s6, -v14
	v_fmac_f32_e32 v14, 0x3f62ad3f, v12
	v_fma_f32 v38, v12, s7, -v37
	v_fmac_f32_e32 v37, 0x3f116cb1, v12
	;; [unrolled: 2-line block ×6, first 2 shown]
	v_add_f32_e32 v7, v35, v7
	v_mul_f32_e32 v12, 0xbeedf032, v6
	v_mul_f32_e32 v47, 0xbf52af12, v6
	;; [unrolled: 1-line block ×6, first 2 shown]
	v_mov_b32_e32 v54, v53
	v_fma_f32 v53, v7, s10, -v53
	v_mov_b32_e32 v55, v6
	v_mov_b32_e32 v46, v12
	v_fma_f32 v12, v7, s6, -v12
	v_mov_b32_e32 v48, v47
	v_mov_b32_e32 v50, v49
	;; [unrolled: 1-line block ×3, first 2 shown]
	v_fmac_f32_e32 v55, 0xbf788fa5, v7
	v_add_f32_e32 v57, v4, v14
	v_add_f32_e32 v14, v5, v53
	;; [unrolled: 1-line block ×3, first 2 shown]
	v_sub_f32_e32 v63, v0, v2
	v_mul_f32_e32 v0, 0xbf52af12, v33
	v_fmac_f32_e32 v46, 0x3f62ad3f, v7
	v_fmac_f32_e32 v48, 0x3f116cb1, v7
	v_fma_f32 v47, v7, s7, -v47
	v_fmac_f32_e32 v50, 0x3df6dbef, v7
	v_fma_f32 v49, v7, s4, -v49
	;; [unrolled: 2-line block ×4, first 2 shown]
	v_add_f32_e32 v56, v4, v15
	v_add_f32_e32 v58, v5, v12
	;; [unrolled: 1-line block ×15, first 2 shown]
	v_sub_f32_e32 v64, v1, v3
	v_fma_f32 v1, v21, s7, -v0
	v_mul_f32_e32 v28, 0xbf7e222b, v11
	v_add_f32_e32 v46, v5, v46
	v_add_f32_e32 v48, v5, v48
	;; [unrolled: 1-line block ×11, first 2 shown]
	v_mul_f32_e32 v2, 0xbf52af12, v32
	v_fma_f32 v29, v9, s4, -v28
	v_mov_b32_e32 v3, v2
	v_add_f32_e32 v1, v29, v1
	v_mul_f32_e32 v29, 0xbf7e222b, v10
	v_fmac_f32_e32 v3, 0x3f116cb1, v20
	v_mov_b32_e32 v34, v29
	v_add_f32_e32 v3, v3, v46
	v_fmac_f32_e32 v34, 0x3df6dbef, v8
	v_mul_f32_e32 v37, 0xbf6f5d39, v17
	v_add_f32_e32 v3, v34, v3
	v_fma_f32 v34, v31, s5, -v37
	v_mul_f32_e32 v39, 0xbf6f5d39, v16
	v_add_f32_e32 v1, v34, v1
	v_mov_b32_e32 v34, v39
	v_fmac_f32_e32 v34, 0xbeb58ec6, v30
	v_mul_f32_e32 v41, 0xbf29c268, v19
	v_add_f32_e32 v3, v34, v3
	v_fma_f32 v34, v23, s10, -v41
	v_mul_f32_e32 v43, 0xbf29c268, v18
	v_add_f32_e32 v1, v34, v1
	v_mov_b32_e32 v34, v43
	v_fmac_f32_e32 v34, 0xbf3f9e67, v22
	v_mul_f32_e32 v44, 0xbe750f2a, v64
	v_add_f32_e32 v3, v34, v3
	v_fma_f32 v34, v53, s11, -v44
	v_add_f32_e32 v34, v34, v1
	v_mul_f32_e32 v1, 0xbe750f2a, v63
	v_mov_b32_e32 v35, v1
	v_fmac_f32_e32 v0, 0x3f116cb1, v21
	v_fmac_f32_e32 v35, 0xbf788fa5, v55
	v_add_f32_e32 v0, v0, v57
	v_fma_f32 v2, v20, s7, -v2
	v_fmac_f32_e32 v28, 0x3df6dbef, v9
	v_add_f32_e32 v35, v35, v3
	v_add_f32_e32 v2, v2, v58
	;; [unrolled: 1-line block ×3, first 2 shown]
	v_fma_f32 v3, v8, s4, -v29
	v_fmac_f32_e32 v37, 0xbeb58ec6, v31
	v_add_f32_e32 v2, v3, v2
	v_add_f32_e32 v0, v37, v0
	v_fma_f32 v3, v30, s5, -v39
	v_fmac_f32_e32 v41, 0xbf3f9e67, v23
	v_add_f32_e32 v2, v3, v2
	v_add_f32_e32 v0, v41, v0
	;; [unrolled: 4-line block ×3, first 2 shown]
	v_fma_f32 v0, v55, s11, -v1
	v_add_f32_e32 v29, v0, v2
	v_mul_f32_e32 v0, 0xbf6f5d39, v33
	v_fma_f32 v1, v21, s5, -v0
	v_mul_f32_e32 v2, 0xbf6f5d39, v32
	v_mul_f32_e32 v39, 0xbe750f2a, v11
	v_add_f32_e32 v1, v1, v38
	v_mov_b32_e32 v3, v2
	v_fma_f32 v37, v9, s11, -v39
	v_mul_f32_e32 v41, 0xbe750f2a, v10
	v_fmac_f32_e32 v3, 0xbeb58ec6, v20
	v_add_f32_e32 v1, v37, v1
	v_mov_b32_e32 v37, v41
	v_add_f32_e32 v3, v3, v48
	v_fmac_f32_e32 v37, 0xbf788fa5, v8
	v_mul_f32_e32 v43, 0x3f29c268, v17
	v_add_f32_e32 v3, v37, v3
	v_fma_f32 v37, v31, s10, -v43
	v_mul_f32_e32 v44, 0x3f29c268, v16
	v_add_f32_e32 v1, v37, v1
	v_mov_b32_e32 v37, v44
	v_fmac_f32_e32 v37, 0xbf3f9e67, v30
	v_mul_f32_e32 v45, 0x3f7e222b, v19
	v_add_f32_e32 v3, v37, v3
	v_fma_f32 v37, v23, s4, -v45
	v_mul_f32_e32 v46, 0x3f7e222b, v18
	v_add_f32_e32 v1, v37, v1
	v_mov_b32_e32 v37, v46
	v_fmac_f32_e32 v37, 0x3df6dbef, v22
	v_mul_f32_e32 v48, 0x3eedf032, v64
	v_add_f32_e32 v3, v37, v3
	v_fma_f32 v37, v53, s6, -v48
	v_add_f32_e32 v37, v37, v1
	v_mul_f32_e32 v1, 0x3eedf032, v63
	v_mov_b32_e32 v38, v1
	v_fmac_f32_e32 v38, 0x3f62ad3f, v55
	v_fma_f32 v2, v20, s5, -v2
	v_add_f32_e32 v38, v38, v3
	v_add_f32_e32 v2, v2, v47
	v_fma_f32 v3, v8, s11, -v41
	v_add_f32_e32 v2, v3, v2
	v_fma_f32 v3, v30, s10, -v44
	v_fmac_f32_e32 v0, 0xbeb58ec6, v21
	v_add_f32_e32 v2, v3, v2
	v_fma_f32 v3, v22, s4, -v46
	v_add_f32_e32 v0, v0, v59
	v_fmac_f32_e32 v39, 0xbf788fa5, v9
	v_add_f32_e32 v2, v3, v2
	v_fma_f32 v1, v55, s6, -v1
	v_add_f32_e32 v0, v39, v0
	v_fmac_f32_e32 v43, 0xbf3f9e67, v31
	v_add_f32_e32 v1, v1, v2
	v_mul_f32_e32 v2, 0xbe750f2a, v33
	v_add_f32_e32 v0, v43, v0
	v_fma_f32 v3, v21, s11, -v2
	v_mul_f32_e32 v41, 0xbe750f2a, v32
	v_mul_f32_e32 v43, 0x3f6f5d39, v11
	v_add_f32_e32 v3, v3, v40
	v_mov_b32_e32 v39, v41
	v_fma_f32 v40, v9, s5, -v43
	v_mul_f32_e32 v44, 0x3f6f5d39, v10
	v_fmac_f32_e32 v45, 0x3df6dbef, v23
	v_fmac_f32_e32 v39, 0xbf788fa5, v20
	v_add_f32_e32 v3, v40, v3
	v_mov_b32_e32 v40, v44
	v_add_f32_e32 v0, v45, v0
	v_add_f32_e32 v39, v39, v50
	v_fmac_f32_e32 v40, 0xbeb58ec6, v8
	v_mul_f32_e32 v45, 0x3eedf032, v17
	v_add_f32_e32 v39, v40, v39
	v_fma_f32 v40, v31, s6, -v45
	v_mul_f32_e32 v46, 0x3eedf032, v16
	v_add_f32_e32 v3, v40, v3
	v_mov_b32_e32 v40, v46
	v_fmac_f32_e32 v48, 0x3f62ad3f, v53
	v_fmac_f32_e32 v40, 0x3f62ad3f, v30
	v_mul_f32_e32 v47, 0xbf52af12, v19
	v_add_f32_e32 v0, v48, v0
	v_add_f32_e32 v39, v40, v39
	v_fma_f32 v40, v23, s7, -v47
	v_mul_f32_e32 v48, 0xbf52af12, v18
	v_fmac_f32_e32 v2, 0xbf788fa5, v21
	v_add_f32_e32 v3, v40, v3
	v_mov_b32_e32 v40, v48
	v_add_f32_e32 v2, v2, v60
	v_fma_f32 v41, v20, s11, -v41
	v_fmac_f32_e32 v43, 0xbeb58ec6, v9
	v_fmac_f32_e32 v40, 0x3f116cb1, v22
	v_mul_f32_e32 v50, 0xbf29c268, v64
	v_add_f32_e32 v41, v41, v49
	v_add_f32_e32 v2, v43, v2
	v_fma_f32 v43, v8, s5, -v44
	v_add_f32_e32 v40, v40, v39
	v_fma_f32 v39, v53, s10, -v50
	;; [unrolled: 2-line block ×3, first 2 shown]
	v_add_f32_e32 v39, v39, v3
	v_mul_f32_e32 v3, 0xbf29c268, v63
	v_add_f32_e32 v41, v43, v41
	v_fma_f32 v43, v22, s7, -v48
	v_mov_b32_e32 v56, v3
	v_fmac_f32_e32 v45, 0x3f62ad3f, v31
	v_add_f32_e32 v41, v43, v41
	v_fma_f32 v3, v55, s10, -v3
	v_mul_f32_e32 v43, 0x3f29c268, v33
	v_add_f32_e32 v2, v45, v2
	v_add_f32_e32 v3, v3, v41
	v_fma_f32 v41, v21, s10, -v43
	v_mul_f32_e32 v45, 0x3eedf032, v11
	v_add_f32_e32 v41, v41, v42
	v_mul_f32_e32 v44, 0x3f29c268, v32
	v_fma_f32 v46, v9, s6, -v45
	v_fmac_f32_e32 v47, 0x3f116cb1, v23
	v_mov_b32_e32 v42, v44
	v_add_f32_e32 v41, v46, v41
	v_mul_f32_e32 v46, 0x3eedf032, v10
	v_add_f32_e32 v2, v47, v2
	v_fmac_f32_e32 v42, 0xbf3f9e67, v20
	v_mov_b32_e32 v47, v46
	v_add_f32_e32 v42, v42, v52
	v_fmac_f32_e32 v47, 0x3f62ad3f, v8
	v_add_f32_e32 v42, v47, v42
	v_mul_f32_e32 v47, 0xbf7e222b, v17
	v_fma_f32 v48, v31, s4, -v47
	v_add_f32_e32 v41, v48, v41
	v_mul_f32_e32 v48, 0xbf7e222b, v16
	v_mov_b32_e32 v49, v48
	v_fmac_f32_e32 v49, 0x3df6dbef, v30
	v_fmac_f32_e32 v50, 0xbf3f9e67, v53
	v_add_f32_e32 v42, v49, v42
	v_mul_f32_e32 v49, 0x3e750f2a, v19
	v_add_f32_e32 v2, v50, v2
	v_fma_f32 v50, v23, s11, -v49
	v_add_f32_e32 v41, v50, v41
	v_mul_f32_e32 v50, 0x3e750f2a, v18
	v_mov_b32_e32 v52, v50
	v_fmac_f32_e32 v43, 0xbf3f9e67, v21
	v_fmac_f32_e32 v52, 0xbf788fa5, v22
	v_add_f32_e32 v43, v43, v61
	v_fma_f32 v44, v20, s10, -v44
	v_fmac_f32_e32 v45, 0x3f62ad3f, v9
	v_fmac_f32_e32 v56, 0xbf3f9e67, v55
	v_add_f32_e32 v42, v52, v42
	v_mul_f32_e32 v52, 0x3f52af12, v64
	v_add_f32_e32 v44, v44, v51
	v_add_f32_e32 v43, v45, v43
	v_fma_f32 v45, v8, s6, -v46
	v_add_f32_e32 v40, v56, v40
	v_fma_f32 v56, v53, s7, -v52
	;; [unrolled: 2-line block ×3, first 2 shown]
	v_add_f32_e32 v41, v56, v41
	v_mul_f32_e32 v56, 0x3f52af12, v63
	v_fmac_f32_e32 v47, 0x3df6dbef, v31
	v_add_f32_e32 v44, v45, v44
	v_fma_f32 v45, v22, s11, -v50
	v_add_f32_e32 v43, v47, v43
	v_fmac_f32_e32 v49, 0xbf788fa5, v23
	v_add_f32_e32 v44, v45, v44
	v_fma_f32 v45, v55, s7, -v56
	v_mul_f32_e32 v47, 0x3f7e222b, v33
	v_add_f32_e32 v43, v49, v43
	v_add_f32_e32 v44, v45, v44
	v_fma_f32 v45, v21, s4, -v47
	v_mul_f32_e32 v49, 0xbf52af12, v11
	v_add_f32_e32 v45, v45, v62
	v_mul_f32_e32 v48, 0x3f7e222b, v32
	v_fma_f32 v50, v9, s7, -v49
	v_fmac_f32_e32 v47, 0x3df6dbef, v21
	v_mov_b32_e32 v46, v48
	v_add_f32_e32 v45, v50, v45
	v_mul_f32_e32 v50, 0xbf52af12, v10
	v_add_f32_e32 v15, v47, v15
	v_fma_f32 v47, v20, s4, -v48
	v_mul_f32_e32 v33, 0x3eedf032, v33
	v_fmac_f32_e32 v46, 0x3df6dbef, v20
	v_mov_b32_e32 v51, v50
	v_add_f32_e32 v14, v47, v14
	v_fma_f32 v47, v21, s6, -v33
	v_mul_f32_e32 v32, 0x3eedf032, v32
	v_add_f32_e32 v46, v46, v54
	v_fmac_f32_e32 v51, 0x3f116cb1, v8
	v_add_f32_e32 v13, v47, v13
	v_mov_b32_e32 v47, v32
	v_fmac_f32_e32 v52, 0x3f116cb1, v53
	v_add_f32_e32 v46, v51, v46
	v_mul_f32_e32 v51, 0x3e750f2a, v17
	v_fmac_f32_e32 v47, 0x3f62ad3f, v20
	v_fma_f32 v20, v20, s6, -v32
	v_add_f32_e32 v43, v52, v43
	v_fma_f32 v52, v31, s11, -v51
	v_add_f32_e32 v6, v20, v6
	v_fma_f32 v20, v8, s7, -v50
	v_mul_f32_e32 v11, 0xbf29c268, v11
	v_add_f32_e32 v45, v52, v45
	v_mul_f32_e32 v52, 0x3e750f2a, v16
	v_add_f32_e32 v14, v20, v14
	v_fma_f32 v20, v9, s10, -v11
	v_mul_f32_e32 v10, 0xbf29c268, v10
	v_mov_b32_e32 v54, v52
	v_fmac_f32_e32 v33, 0x3f62ad3f, v21
	v_add_f32_e32 v13, v20, v13
	v_mov_b32_e32 v20, v10
	v_fmac_f32_e32 v54, 0xbf788fa5, v30
	v_add_f32_e32 v7, v33, v7
	v_fmac_f32_e32 v20, 0xbf3f9e67, v8
	v_fmac_f32_e32 v11, 0xbf3f9e67, v9
	v_fma_f32 v8, v8, s10, -v10
	v_mul_f32_e32 v10, 0x3f52af12, v17
	v_add_f32_e32 v46, v54, v46
	v_mul_f32_e32 v54, 0x3eedf032, v19
	v_add_f32_e32 v7, v11, v7
	v_fma_f32 v11, v31, s7, -v10
	v_mov_b32_e32 v57, v56
	v_fma_f32 v56, v23, s6, -v54
	v_add_f32_e32 v11, v11, v13
	v_mul_f32_e32 v13, 0x3f52af12, v16
	v_fmac_f32_e32 v10, 0x3f116cb1, v31
	v_add_f32_e32 v45, v56, v45
	v_mul_f32_e32 v56, 0x3eedf032, v18
	v_fmac_f32_e32 v49, 0x3f116cb1, v9
	v_add_f32_e32 v6, v8, v6
	v_fma_f32 v9, v30, s11, -v52
	v_add_f32_e32 v7, v10, v7
	v_fma_f32 v10, v30, s7, -v13
	v_add_f32_e32 v9, v9, v14
	v_add_f32_e32 v6, v10, v6
	v_fma_f32 v10, v22, s6, -v56
	v_add_f32_e32 v9, v10, v9
	v_mul_f32_e32 v10, 0xbf6f5d39, v19
	v_fmac_f32_e32 v57, 0x3f116cb1, v55
	v_add_f32_e32 v12, v47, v12
	v_mov_b32_e32 v14, v13
	v_fma_f32 v13, v23, s5, -v10
	v_add_f32_e32 v42, v57, v42
	v_mov_b32_e32 v57, v56
	v_add_f32_e32 v12, v20, v12
	v_fmac_f32_e32 v14, 0x3f116cb1, v30
	v_add_f32_e32 v11, v13, v11
	v_mul_f32_e32 v13, 0xbf6f5d39, v18
	v_fmac_f32_e32 v57, 0x3f62ad3f, v22
	v_add_f32_e32 v15, v49, v15
	v_fmac_f32_e32 v51, 0xbf788fa5, v31
	v_add_f32_e32 v12, v14, v12
	v_mov_b32_e32 v14, v13
	v_add_f32_e32 v46, v57, v46
	v_mul_f32_e32 v57, 0xbf6f5d39, v64
	v_add_f32_e32 v8, v51, v15
	v_fmac_f32_e32 v54, 0x3f62ad3f, v23
	v_fmac_f32_e32 v14, 0xbeb58ec6, v22
	;; [unrolled: 1-line block ×3, first 2 shown]
	v_fma_f32 v58, v53, s5, -v57
	v_add_f32_e32 v8, v54, v8
	v_add_f32_e32 v12, v14, v12
	;; [unrolled: 1-line block ×3, first 2 shown]
	v_fma_f32 v7, v22, s5, -v13
	v_fmac_f32_e32 v57, 0xbeb58ec6, v53
	v_mul_f32_e32 v14, 0x3f7e222b, v64
	v_add_f32_e32 v45, v58, v45
	v_mul_f32_e32 v58, 0xbf6f5d39, v63
	v_add_f32_e32 v13, v7, v6
	v_add_f32_e32 v6, v57, v8
	v_fma_f32 v8, v53, s4, -v14
	v_fma_f32 v7, v55, s5, -v58
	v_add_f32_e32 v8, v8, v11
	v_mul_f32_e32 v11, 0x3f7e222b, v63
	v_add_f32_e32 v7, v7, v9
	v_mov_b32_e32 v9, v11
	v_mov_b32_e32 v59, v58
	v_fmac_f32_e32 v9, 0x3df6dbef, v55
	v_fma_f32 v11, v55, s4, -v11
	s_movk_i32 s4, 0x60
	v_fmac_f32_e32 v59, 0xbeb58ec6, v55
	v_add_f32_e32 v9, v9, v12
	v_fmac_f32_e32 v14, 0x3df6dbef, v53
	v_mad_u32_u24 v12, v24, s4, v36
	v_add_f32_e32 v46, v59, v46
	v_add_f32_e32 v10, v14, v10
	;; [unrolled: 1-line block ×3, first 2 shown]
	s_barrier
	ds_write2_b64 v12, v[4:5], v[34:35] offset1:1
	ds_write2_b64 v12, v[37:38], v[39:40] offset0:2 offset1:3
	ds_write2_b64 v12, v[41:42], v[45:46] offset0:4 offset1:5
	;; [unrolled: 1-line block ×5, first 2 shown]
	ds_write_b64 v12, v[28:29] offset:96
	v_add_u32_e32 v12, 0x2800, v36
	s_waitcnt lgkmcnt(0)
	s_barrier
	ds_read2_b64 v[4:7], v36 offset1:156
	ds_read2_b64 v[0:3], v25 offset0:56 offset1:251
	ds_read2_b64 v[20:23], v12 offset0:46 offset1:241
	v_add_u32_e32 v12, 0x1400, v36
	v_add_u32_e32 v8, 0x1e00, v36
	ds_read2_b64 v[16:19], v12 offset0:23 offset1:179
	v_add_u32_e32 v12, 0x3400, v36
	ds_read2_b64 v[8:11], v8 offset0:54 offset1:210
	ds_read2_b64 v[12:15], v12 offset0:13 offset1:169
	v_cmp_gt_u32_e32 vcc, 39, v24
                                        ; implicit-def: $vgpr31
                                        ; implicit-def: $vgpr33
                                        ; implicit-def: $vgpr35
	s_and_saveexec_b64 s[4:5], vcc
	s_cbranch_execz .LBB0_21
; %bb.20:
	ds_read_b64 v[28:29], v36 offset:3744
	ds_read_b64 v[30:31], v36 offset:7800
	;; [unrolled: 1-line block ×4, first 2 shown]
.LBB0_21:
	s_or_b64 exec, exec, s[4:5]
	s_movk_i32 s4, 0x4f
	v_mul_lo_u16_sdwa v37, v24, s4 dst_sel:DWORD dst_unused:UNUSED_PAD src0_sel:BYTE_0 src1_sel:DWORD
	v_lshrrev_b16_e32 v50, 10, v37
	v_mul_lo_u16_e32 v37, 13, v50
	v_sub_u16_e32 v51, v24, v37
	v_mov_b32_e32 v52, 3
	v_add_u32_e32 v25, 0x138, v24
	v_mul_u32_u24_sdwa v37, v51, v52 dst_sel:DWORD dst_unused:UNUSED_PAD src0_sel:BYTE_0 src1_sel:DWORD
	s_movk_i32 s4, 0x4ec5
	v_lshlrev_b32_e32 v53, 3, v37
	v_mul_u32_u24_sdwa v37, v25, s4 dst_sel:DWORD dst_unused:UNUSED_PAD src0_sel:WORD_0 src1_sel:DWORD
	v_lshrrev_b32_e32 v54, 18, v37
	v_mul_lo_u16_e32 v37, 13, v54
	v_sub_u16_e32 v55, v25, v37
	v_mul_u32_u24_e32 v37, 3, v55
	v_lshlrev_b32_e32 v56, 3, v37
	global_load_dwordx2 v[46:47], v53, s[8:9] offset:16
	global_load_dwordx4 v[38:41], v56, s[8:9]
	v_add_u32_e32 v37, 0x9c, v24
	v_mul_u32_u24_sdwa v42, v37, s4 dst_sel:DWORD dst_unused:UNUSED_PAD src0_sel:WORD_0 src1_sel:DWORD
	v_lshrrev_b32_e32 v57, 18, v42
	v_mul_lo_u16_e32 v42, 13, v57
	v_sub_u16_e32 v58, v37, v42
	v_mul_u32_u24_e32 v42, 3, v58
	v_lshlrev_b32_e32 v59, 3, v42
	global_load_dwordx4 v[42:45], v53, s[8:9]
	global_load_dwordx2 v[48:49], v56, s[8:9] offset:16
	s_waitcnt vmcnt(3) lgkmcnt(3)
	v_mul_f32_e32 v53, v47, v23
	v_mul_f32_e32 v47, v47, v22
	s_waitcnt vmcnt(2)
	v_mul_f32_e32 v56, v41, v21
	v_mul_f32_e32 v41, v41, v20
	v_fma_f32 v53, v46, v22, -v53
	v_fmac_f32_e32 v47, v46, v23
	v_fma_f32 v46, v40, v20, -v56
	v_fmac_f32_e32 v41, v40, v21
	global_load_dwordx4 v[20:23], v59, s[8:9]
	s_waitcnt lgkmcnt(2)
	v_mul_f32_e32 v40, v39, v19
	v_mul_f32_e32 v39, v39, v18
	v_fma_f32 v40, v38, v18, -v40
	v_fmac_f32_e32 v39, v38, v19
	global_load_dwordx2 v[18:19], v59, s[8:9] offset:16
	v_add_u32_e32 v38, 0x1d4, v24
	v_sub_f32_e32 v41, v1, v41
	v_fma_f32 v1, v1, 2.0, -v41
	s_waitcnt vmcnt(1)
	v_mul_f32_e32 v56, v21, v17
	v_mul_f32_e32 v21, v21, v16
	v_fma_f32 v56, v20, v16, -v56
	v_mul_u32_u24_sdwa v16, v38, s4 dst_sel:DWORD dst_unused:UNUSED_PAD src0_sel:WORD_0 src1_sel:DWORD
	v_lshrrev_b32_e32 v16, 18, v16
	v_fmac_f32_e32 v21, v20, v17
	v_mul_lo_u16_e32 v17, 13, v16
	v_sub_u16_e32 v17, v38, v17
	s_waitcnt lgkmcnt(1)
	v_mul_f32_e32 v20, v23, v11
	v_mul_f32_e32 v23, v23, v10
	v_fma_f32 v20, v22, v10, -v20
	v_mul_u32_u24_e32 v10, 3, v17
	v_fmac_f32_e32 v23, v22, v11
	v_lshlrev_b32_e32 v22, 3, v10
	s_waitcnt vmcnt(0) lgkmcnt(0)
	v_mul_f32_e32 v10, v19, v13
	v_mul_f32_e32 v19, v19, v12
	;; [unrolled: 1-line block ×4, first 2 shown]
	v_fma_f32 v59, v18, v12, -v10
	v_fmac_f32_e32 v19, v18, v13
	v_fma_f32 v60, v14, v48, -v11
	v_fmac_f32_e32 v49, v15, v48
	global_load_dwordx4 v[10:13], v22, s[8:9]
	global_load_dwordx2 v[14:15], v22, s[8:9] offset:16
	v_mul_f32_e32 v18, v45, v9
	v_mul_f32_e32 v22, v45, v8
	v_fma_f32 v8, v44, v8, -v18
	v_mul_f32_e32 v18, v43, v2
	v_fmac_f32_e32 v22, v44, v9
	v_mul_f32_e32 v9, v43, v3
	v_fmac_f32_e32 v18, v42, v3
	v_fma_f32 v2, v42, v2, -v9
	s_waitcnt vmcnt(0)
	s_barrier
	v_mul_f32_e32 v43, v31, v11
	v_mul_f32_e32 v44, v30, v11
	;; [unrolled: 1-line block ×3, first 2 shown]
	v_fma_f32 v30, v30, v10, -v43
	v_fmac_f32_e32 v44, v31, v10
	v_sub_f32_e32 v10, v4, v8
	v_sub_f32_e32 v8, v18, v47
	v_mul_f32_e32 v42, v32, v13
	v_mul_f32_e32 v9, v35, v15
	;; [unrolled: 1-line block ×3, first 2 shown]
	v_fma_f32 v31, v32, v12, -v3
	v_fma_f32 v3, v18, 2.0, -v8
	v_sub_f32_e32 v18, v6, v20
	v_sub_f32_e32 v20, v7, v23
	v_sub_f32_e32 v15, v56, v59
	v_fmac_f32_e32 v42, v33, v12
	v_fma_f32 v32, v34, v14, -v9
	v_fmac_f32_e32 v45, v35, v14
	v_fma_f32 v12, v6, 2.0, -v18
	v_sub_f32_e32 v14, v21, v19
	v_fma_f32 v6, v56, 2.0, -v15
	v_add_f32_e32 v15, v20, v15
	v_sub_f32_e32 v33, v0, v46
	v_sub_f32_e32 v35, v40, v60
	;; [unrolled: 1-line block ×3, first 2 shown]
	v_fma_f32 v13, v7, 2.0, -v20
	v_fma_f32 v7, v21, 2.0, -v14
	;; [unrolled: 1-line block ×6, first 2 shown]
	v_sub_f32_e32 v34, v33, v34
	v_add_f32_e32 v35, v41, v35
	v_sub_f32_e32 v20, v0, v20
	v_sub_f32_e32 v21, v1, v21
	v_fma_f32 v39, v33, 2.0, -v34
	v_fma_f32 v40, v41, 2.0, -v35
	v_sub_f32_e32 v33, v28, v31
	v_sub_f32_e32 v41, v29, v42
	;; [unrolled: 1-line block ×5, first 2 shown]
	v_fma_f32 v22, v0, 2.0, -v20
	v_fma_f32 v23, v1, 2.0, -v21
	;; [unrolled: 1-line block ×6, first 2 shown]
	v_sub_f32_e32 v9, v2, v53
	v_sub_f32_e32 v30, v0, v28
	;; [unrolled: 1-line block ×3, first 2 shown]
	v_fma_f32 v4, v4, 2.0, -v10
	v_fma_f32 v5, v5, 2.0, -v11
	;; [unrolled: 1-line block ×5, first 2 shown]
	v_sub_f32_e32 v0, v33, v42
	v_add_f32_e32 v1, v41, v32
	v_sub_f32_e32 v2, v4, v2
	v_sub_f32_e32 v3, v5, v3
	;; [unrolled: 1-line block ×3, first 2 shown]
	v_add_f32_e32 v9, v11, v9
	v_fma_f32 v32, v33, 2.0, -v0
	v_fma_f32 v33, v41, 2.0, -v1
	v_mul_u32_u24_e32 v41, 0x1a0, v50
	v_lshlrev_b32_sdwa v42, v52, v51 dst_sel:DWORD dst_unused:UNUSED_PAD src0_sel:DWORD src1_sel:BYTE_0
	v_fma_f32 v4, v4, 2.0, -v2
	v_fma_f32 v5, v5, 2.0, -v3
	;; [unrolled: 1-line block ×4, first 2 shown]
	v_add3_u32 v41, 0, v41, v42
	v_sub_f32_e32 v6, v12, v6
	v_sub_f32_e32 v7, v13, v7
	;; [unrolled: 1-line block ×3, first 2 shown]
	ds_write2_b64 v41, v[4:5], v[10:11] offset1:13
	ds_write2_b64 v41, v[2:3], v[8:9] offset0:26 offset1:39
	v_mul_u32_u24_e32 v2, 0x1a0, v57
	v_lshlrev_b32_e32 v3, 3, v58
	v_fma_f32 v12, v12, 2.0, -v6
	v_fma_f32 v13, v13, 2.0, -v7
	v_fma_f32 v18, v18, 2.0, -v14
	v_add3_u32 v2, 0, v2, v3
	ds_write2_b64 v2, v[12:13], v[18:19] offset1:13
	ds_write2_b64 v2, v[6:7], v[14:15] offset0:26 offset1:39
	v_mul_u32_u24_e32 v2, 0x1a0, v54
	v_lshlrev_b32_e32 v3, 3, v55
	v_add3_u32 v2, 0, v2, v3
	ds_write2_b64 v2, v[22:23], v[39:40] offset1:13
	ds_write2_b64 v2, v[20:21], v[34:35] offset0:26 offset1:39
	s_and_saveexec_b64 s[4:5], vcc
	s_cbranch_execz .LBB0_23
; %bb.22:
	v_mul_lo_u16_e32 v2, 52, v16
	v_lshlrev_b32_e32 v3, 3, v17
	v_lshlrev_b32_e32 v2, 3, v2
	v_add3_u32 v2, 0, v3, v2
	ds_write2_b64 v2, v[28:29], v[32:33] offset1:13
	ds_write2_b64 v2, v[30:31], v[0:1] offset0:26 offset1:39
.LBB0_23:
	s_or_b64 exec, exec, s[4:5]
	v_add_u32_e32 v0, 0x1400, v36
	s_waitcnt lgkmcnt(0)
	s_barrier
	ds_read2_b64 v[16:19], v0 offset0:36 offset1:192
	v_add_u32_e32 v0, 0x2800, v36
	ds_read2_b64 v[8:11], v0 offset0:72 offset1:228
	v_add_u32_e32 v0, 0x800, v36
	v_add_u32_e32 v12, 0x1c00, v36
	;; [unrolled: 1-line block ×3, first 2 shown]
	ds_read2_b64 v[4:7], v36 offset1:156
	ds_read2_b64 v[0:3], v0 offset0:56 offset1:212
	ds_read2_b64 v[12:15], v12 offset0:92 offset1:248
	ds_read2_b64 v[20:23], v20 offset1:156
	v_cmp_gt_u32_e32 vcc, 52, v24
	s_and_saveexec_b64 s[4:5], vcc
	s_cbranch_execz .LBB0_25
; %bb.24:
	ds_read_b64 v[28:29], v36 offset:4992
	ds_read_b64 v[32:33], v36 offset:10400
	;; [unrolled: 1-line block ×3, first 2 shown]
.LBB0_25:
	s_or_b64 exec, exec, s[4:5]
	s_movk_i32 s4, 0x4f
	v_mul_lo_u16_sdwa v34, v24, s4 dst_sel:DWORD dst_unused:UNUSED_PAD src0_sel:BYTE_0 src1_sel:DWORD
	s_movk_i32 s6, 0x4ec5
	v_lshrrev_b16_e32 v34, 12, v34
	v_mul_u32_u24_sdwa v40, v37, s6 dst_sel:DWORD dst_unused:UNUSED_PAD src0_sel:WORD_0 src1_sel:DWORD
	v_mul_lo_u16_e32 v35, 52, v34
	v_lshrrev_b32_e32 v55, 20, v40
	v_mul_u32_u24_sdwa v47, v25, s6 dst_sel:DWORD dst_unused:UNUSED_PAD src0_sel:WORD_0 src1_sel:DWORD
	v_sub_u16_e32 v35, v24, v35
	v_mov_b32_e32 v39, 4
	v_mul_lo_u16_e32 v40, 52, v55
	v_lshrrev_b32_e32 v56, 20, v47
	v_mul_u32_u24_sdwa v51, v38, s6 dst_sel:DWORD dst_unused:UNUSED_PAD src0_sel:WORD_0 src1_sel:DWORD
	v_lshlrev_b32_sdwa v39, v39, v35 dst_sel:DWORD dst_unused:UNUSED_PAD src0_sel:DWORD src1_sel:BYTE_0
	v_sub_u16_e32 v37, v37, v40
	v_mul_lo_u16_e32 v47, 52, v56
	v_lshrrev_b32_e32 v57, 20, v51
	global_load_dwordx4 v[39:42], v39, s[8:9] offset:312
	v_lshlrev_b32_e32 v43, 4, v37
	global_load_dwordx4 v[43:46], v43, s[8:9] offset:312
	v_sub_u16_e32 v25, v25, v47
	v_mul_lo_u16_e32 v51, 52, v57
	v_lshlrev_b32_e32 v47, 4, v25
	v_sub_u16_e32 v38, v38, v51
	global_load_dwordx4 v[47:50], v47, s[8:9] offset:312
	v_lshlrev_b32_e32 v51, 4, v38
	global_load_dwordx4 v[51:54], v51, s[8:9] offset:312
	v_mul_u32_u24_e32 v34, 0x4e0, v34
	s_waitcnt vmcnt(0) lgkmcnt(0)
	s_barrier
	v_mul_f32_e32 v58, v40, v17
	v_mul_f32_e32 v59, v42, v9
	;; [unrolled: 1-line block ×6, first 2 shown]
	v_fma_f32 v16, v39, v16, -v58
	v_fma_f32 v8, v41, v8, -v59
	v_mul_f32_e32 v60, v44, v19
	v_mul_f32_e32 v44, v44, v18
	v_mul_f32_e32 v62, v48, v13
	v_fmac_f32_e32 v40, v39, v17
	v_fmac_f32_e32 v42, v41, v9
	v_mul_f32_e32 v9, v50, v21
	v_fmac_f32_e32 v46, v45, v11
	v_add_f32_e32 v11, v16, v8
	v_mul_f32_e32 v48, v48, v12
	v_mul_f32_e32 v39, v50, v20
	;; [unrolled: 1-line block ×4, first 2 shown]
	v_fma_f32 v18, v43, v18, -v60
	v_fmac_f32_e32 v44, v43, v19
	v_mul_f32_e32 v19, v23, v54
	v_fma_f32 v10, v45, v10, -v61
	v_fma_f32 v45, v47, v12, -v62
	;; [unrolled: 1-line block ×3, first 2 shown]
	v_add_f32_e32 v9, v4, v16
	v_add_f32_e32 v12, v5, v40
	v_fma_f32 v4, -0.5, v11, v4
	v_mul_f32_e32 v43, v22, v54
	v_fmac_f32_e32 v48, v47, v13
	v_fmac_f32_e32 v39, v49, v21
	v_fma_f32 v47, v51, v14, -v17
	v_fmac_f32_e32 v41, v51, v15
	v_fma_f32 v49, v22, v53, -v19
	v_sub_f32_e32 v17, v40, v42
	v_sub_f32_e32 v16, v16, v8
	v_add_f32_e32 v15, v18, v10
	v_add_f32_e32 v22, v44, v46
	;; [unrolled: 1-line block ×4, first 2 shown]
	v_mov_b32_e32 v12, v4
	v_add_f32_e32 v14, v6, v18
	v_add_f32_e32 v21, v7, v44
	v_fma_f32 v6, -0.5, v15, v6
	v_fmac_f32_e32 v7, -0.5, v22
	v_fmac_f32_e32 v4, 0xbf5db3d7, v17
	v_fmac_f32_e32 v12, 0x3f5db3d7, v17
	v_add_f32_e32 v17, v45, v20
	v_fmac_f32_e32 v43, v23, v53
	v_add_f32_e32 v13, v40, v42
	v_sub_f32_e32 v19, v44, v46
	v_sub_f32_e32 v18, v18, v10
	v_add_f32_e32 v23, v0, v45
	v_add_f32_e32 v10, v14, v10
	v_mov_b32_e32 v14, v6
	v_mov_b32_e32 v15, v7
	v_fma_f32 v0, -0.5, v17, v0
	v_fma_f32 v5, -0.5, v13, v5
	v_fmac_f32_e32 v6, 0xbf5db3d7, v19
	v_fmac_f32_e32 v7, 0x3f5db3d7, v18
	;; [unrolled: 1-line block ×4, first 2 shown]
	v_sub_f32_e32 v17, v48, v39
	v_mov_b32_e32 v18, v0
	v_add_f32_e32 v19, v48, v39
	v_mov_b32_e32 v13, v5
	v_fmac_f32_e32 v18, 0x3f5db3d7, v17
	v_fmac_f32_e32 v0, 0xbf5db3d7, v17
	v_add_f32_e32 v17, v1, v48
	v_fma_f32 v1, -0.5, v19, v1
	v_add_f32_e32 v11, v21, v46
	v_fmac_f32_e32 v5, 0x3f5db3d7, v16
	v_fmac_f32_e32 v13, 0xbf5db3d7, v16
	v_add_f32_e32 v16, v23, v20
	v_sub_f32_e32 v20, v45, v20
	v_mov_b32_e32 v19, v1
	v_add_f32_e32 v21, v47, v49
	v_fmac_f32_e32 v19, 0xbf5db3d7, v20
	v_fmac_f32_e32 v1, 0x3f5db3d7, v20
	v_add_f32_e32 v20, v2, v47
	v_fma_f32 v2, -0.5, v21, v2
	v_sub_f32_e32 v21, v41, v43
	v_mov_b32_e32 v22, v2
	v_add_f32_e32 v23, v41, v43
	v_fmac_f32_e32 v22, 0x3f5db3d7, v21
	v_fmac_f32_e32 v2, 0xbf5db3d7, v21
	v_add_f32_e32 v21, v3, v41
	v_fmac_f32_e32 v3, -0.5, v23
	v_add_f32_e32 v17, v17, v39
	v_sub_f32_e32 v39, v47, v49
	v_mov_b32_e32 v23, v3
	v_fmac_f32_e32 v23, 0xbf5db3d7, v39
	v_fmac_f32_e32 v3, 0x3f5db3d7, v39
	v_mov_b32_e32 v39, 3
	v_lshlrev_b32_sdwa v35, v39, v35 dst_sel:DWORD dst_unused:UNUSED_PAD src0_sel:DWORD src1_sel:BYTE_0
	v_add3_u32 v34, 0, v34, v35
	ds_write2_b64 v34, v[8:9], v[12:13] offset1:52
	ds_write_b64 v34, v[4:5] offset:832
	v_mul_u32_u24_e32 v4, 0x4e0, v55
	v_lshlrev_b32_e32 v5, 3, v37
	v_add3_u32 v4, 0, v4, v5
	ds_write2_b64 v4, v[10:11], v[14:15] offset1:52
	ds_write_b64 v4, v[6:7] offset:832
	v_mul_u32_u24_e32 v4, 0x4e0, v56
	v_lshlrev_b32_e32 v5, 3, v25
	;; [unrolled: 5-line block ×3, first 2 shown]
	v_add_f32_e32 v20, v20, v49
	v_add_f32_e32 v21, v21, v43
	v_add3_u32 v0, 0, v0, v1
	ds_write2_b64 v0, v[20:21], v[22:23] offset1:52
	ds_write_b64 v0, v[2:3] offset:832
	s_and_saveexec_b64 s[4:5], vcc
	s_cbranch_execz .LBB0_27
; %bb.26:
	v_add_u32_e32 v0, 0x270, v24
	v_mul_u32_u24_sdwa v1, v0, s6 dst_sel:DWORD dst_unused:UNUSED_PAD src0_sel:WORD_0 src1_sel:DWORD
	v_lshrrev_b32_e32 v1, 20, v1
	v_mul_lo_u16_e32 v1, 52, v1
	v_sub_u16_e32 v4, v0, v1
	v_lshlrev_b32_e32 v0, 4, v4
	global_load_dwordx4 v[0:3], v0, s[8:9] offset:312
	v_lshl_add_u32 v6, v4, 3, 0
	v_add_u32_e32 v7, 0x3800, v6
	s_waitcnt vmcnt(0)
	v_mul_f32_e32 v4, v33, v1
	v_mul_f32_e32 v5, v31, v3
	;; [unrolled: 1-line block ×4, first 2 shown]
	v_fma_f32 v4, v32, v0, -v4
	v_fma_f32 v5, v30, v2, -v5
	v_fmac_f32_e32 v1, v33, v0
	v_fmac_f32_e32 v3, v31, v2
	v_add_f32_e32 v0, v1, v3
	v_add_f32_e32 v2, v4, v5
	v_sub_f32_e32 v8, v4, v5
	v_sub_f32_e32 v9, v1, v3
	v_add_f32_e32 v10, v29, v1
	v_add_f32_e32 v4, v28, v4
	v_fma_f32 v1, -0.5, v0, v29
	v_fma_f32 v0, -0.5, v2, v28
	v_add_f32_e32 v3, v10, v3
	v_add_f32_e32 v2, v4, v5
	v_mov_b32_e32 v5, v1
	v_mov_b32_e32 v4, v0
	v_fmac_f32_e32 v1, 0xbf5db3d7, v8
	v_fmac_f32_e32 v0, 0x3f5db3d7, v9
	v_fmac_f32_e32 v5, 0x3f5db3d7, v8
	v_fmac_f32_e32 v4, 0xbf5db3d7, v9
	ds_write2_b64 v7, v[2:3], v[0:1] offset0:80 offset1:132
	ds_write_b64 v6, v[4:5] offset:15808
.LBB0_27:
	s_or_b64 exec, exec, s[4:5]
	v_mul_u32_u24_e32 v0, 12, v24
	v_lshlrev_b32_e32 v0, 3, v0
	s_waitcnt lgkmcnt(0)
	s_barrier
	global_load_dwordx4 v[4:7], v0, s[8:9] offset:1144
	global_load_dwordx4 v[8:11], v0, s[8:9] offset:1160
	;; [unrolled: 1-line block ×6, first 2 shown]
	ds_read2_b64 v[32:35], v36 offset1:156
	v_add_u32_e32 v3, 0x800, v36
	v_add_u32_e32 v25, 0x1800, v36
	;; [unrolled: 1-line block ×5, first 2 shown]
	ds_read_b64 v[53:54], v36 offset:4992
	ds_read_b64 v[55:56], v36 offset:14976
	ds_read2_b64 v[37:40], v3 offset0:56 offset1:212
	ds_read2_b32 v[57:58], v25 offset0:24 offset1:25
	ds_read2_b64 v[41:44], v2 offset0:40 offset1:196
	ds_read2_b64 v[45:48], v1 offset0:96 offset1:252
	;; [unrolled: 1-line block ×3, first 2 shown]
	s_mov_b32 s6, 0x3f62ad3f
	s_mov_b32 s5, 0x3f116cb1
	;; [unrolled: 1-line block ×6, first 2 shown]
	s_waitcnt vmcnt(0) lgkmcnt(0)
	s_barrier
	v_mul_f32_e32 v25, v5, v35
	v_mul_f32_e32 v59, v11, v54
	;; [unrolled: 1-line block ×3, first 2 shown]
	v_fma_f32 v53, v10, v53, -v59
	v_fmac_f32_e32 v11, v10, v54
	v_mul_f32_e32 v10, v9, v40
	v_mul_f32_e32 v9, v9, v39
	v_fma_f32 v10, v8, v39, -v10
	v_fmac_f32_e32 v9, v8, v40
	v_mul_f32_e32 v8, v5, v34
	v_mul_f32_e32 v5, v7, v38
	v_mul_f32_e32 v7, v7, v37
	v_mul_f32_e32 v39, v58, v13
	v_fma_f32 v37, v6, v37, -v5
	v_fmac_f32_e32 v7, v6, v38
	v_mul_f32_e32 v6, v13, v57
	v_mul_f32_e32 v5, v42, v15
	;; [unrolled: 6-line block ×3, first 2 shown]
	v_mul_f32_e32 v34, v48, v21
	v_fma_f32 v35, v12, v57, -v39
	v_fmac_f32_e32 v6, v58, v12
	v_mul_f32_e32 v12, v47, v21
	v_mul_f32_e32 v21, v50, v23
	v_fma_f32 v38, v41, v14, -v5
	v_fmac_f32_e32 v13, v42, v14
	v_mul_f32_e32 v14, v49, v23
	v_mul_f32_e32 v5, v52, v29
	;; [unrolled: 1-line block ×4, first 2 shown]
	v_fma_f32 v15, v43, v16, -v15
	v_fmac_f32_e32 v17, v44, v16
	v_mul_f32_e32 v16, v55, v31
	v_fma_f32 v31, v45, v18, -v4
	v_add_f32_e32 v4, v25, v32
	v_add_f32_e32 v4, v4, v37
	v_mul_f32_e32 v19, v45, v19
	v_add_f32_e32 v4, v4, v10
	v_fmac_f32_e32 v19, v46, v18
	v_fma_f32 v18, v47, v20, -v34
	v_fmac_f32_e32 v12, v48, v20
	v_fma_f32 v20, v49, v22, -v21
	v_fma_f32 v21, v51, v28, -v5
	v_add_f32_e32 v5, v8, v33
	v_add_f32_e32 v4, v4, v53
	;; [unrolled: 1-line block ×14, first 2 shown]
	v_fmac_f32_e32 v14, v50, v22
	v_fma_f32 v22, v55, v30, -v29
	v_add_f32_e32 v5, v5, v19
	v_add_f32_e32 v4, v4, v21
	v_fmac_f32_e32 v23, v52, v28
	v_add_f32_e32 v5, v5, v12
	v_add_f32_e32 v4, v4, v22
	;; [unrolled: 1-line block ×3, first 2 shown]
	v_sub_f32_e32 v22, v25, v22
	v_fmac_f32_e32 v16, v56, v30
	v_add_f32_e32 v5, v5, v14
	v_mul_f32_e32 v30, 0xbeedf032, v22
	v_mul_f32_e32 v41, 0xbf52af12, v22
	;; [unrolled: 1-line block ×6, first 2 shown]
	v_add_f32_e32 v5, v5, v23
	v_add_f32_e32 v29, v8, v16
	v_sub_f32_e32 v8, v8, v16
	v_mov_b32_e32 v34, v30
	v_mov_b32_e32 v42, v41
	;; [unrolled: 1-line block ×6, first 2 shown]
	v_add_f32_e32 v5, v5, v16
	v_mul_f32_e32 v16, 0xbeedf032, v8
	v_fmac_f32_e32 v34, 0x3f62ad3f, v29
	v_fma_f32 v30, v29, s6, -v30
	v_mul_f32_e32 v39, 0xbf52af12, v8
	v_fmac_f32_e32 v42, 0x3f116cb1, v29
	v_fma_f32 v41, v29, s5, -v41
	;; [unrolled: 3-line block ×6, first 2 shown]
	v_add_f32_e32 v29, v7, v23
	v_sub_f32_e32 v7, v7, v23
	v_fma_f32 v25, v28, s6, -v16
	v_fmac_f32_e32 v16, 0x3f62ad3f, v28
	v_fma_f32 v40, v28, s5, -v39
	v_fmac_f32_e32 v39, 0x3f116cb1, v28
	;; [unrolled: 2-line block ×6, first 2 shown]
	v_add_f32_e32 v28, v37, v21
	v_mul_f32_e32 v23, 0xbf52af12, v7
	v_add_f32_e32 v25, v25, v32
	v_add_f32_e32 v16, v16, v32
	;; [unrolled: 1-line block ×12, first 2 shown]
	v_sub_f32_e32 v21, v37, v21
	v_fma_f32 v32, v28, s5, -v23
	v_add_f32_e32 v25, v32, v25
	v_mul_f32_e32 v32, 0xbf52af12, v21
	v_fmac_f32_e32 v23, 0x3f116cb1, v28
	v_add_f32_e32 v30, v30, v33
	v_add_f32_e32 v16, v23, v16
	v_fma_f32 v23, v29, s5, -v32
	v_add_f32_e32 v34, v34, v33
	v_add_f32_e32 v42, v42, v33
	;; [unrolled: 1-line block ×11, first 2 shown]
	v_mov_b32_e32 v33, v32
	v_add_f32_e32 v23, v23, v30
	v_mul_f32_e32 v30, 0xbf6f5d39, v7
	v_fmac_f32_e32 v33, 0x3f116cb1, v29
	v_fma_f32 v32, v28, s7, -v30
	v_fmac_f32_e32 v30, 0xbeb58ec6, v28
	v_add_f32_e32 v33, v33, v34
	v_mul_f32_e32 v34, 0xbf6f5d39, v21
	v_add_f32_e32 v30, v30, v39
	v_mul_f32_e32 v39, 0xbe750f2a, v7
	v_add_f32_e32 v32, v32, v40
	v_mov_b32_e32 v37, v34
	v_fma_f32 v34, v29, s7, -v34
	v_fma_f32 v40, v28, s9, -v39
	v_fmac_f32_e32 v39, 0xbf788fa5, v28
	v_fmac_f32_e32 v37, 0xbeb58ec6, v29
	v_add_f32_e32 v34, v34, v41
	v_mul_f32_e32 v41, 0xbe750f2a, v21
	v_add_f32_e32 v39, v39, v43
	v_mul_f32_e32 v43, 0x3f29c268, v7
	v_add_f32_e32 v37, v37, v42
	v_add_f32_e32 v40, v40, v44
	v_mov_b32_e32 v42, v41
	v_fma_f32 v41, v29, s9, -v41
	v_fma_f32 v44, v28, s8, -v43
	v_fmac_f32_e32 v43, 0xbf3f9e67, v28
	v_fmac_f32_e32 v42, 0xbf788fa5, v29
	v_add_f32_e32 v41, v41, v45
	v_mul_f32_e32 v45, 0x3f29c268, v21
	v_add_f32_e32 v43, v43, v47
	v_mul_f32_e32 v47, 0x3f7e222b, v7
	v_add_f32_e32 v42, v42, v46
	v_add_f32_e32 v44, v44, v48
	v_mov_b32_e32 v46, v45
	v_fma_f32 v45, v29, s8, -v45
	v_fma_f32 v48, v28, s4, -v47
	v_fmac_f32_e32 v47, 0x3df6dbef, v28
	v_mul_f32_e32 v7, 0x3eedf032, v7
	v_add_f32_e32 v45, v45, v49
	v_mul_f32_e32 v49, 0x3f7e222b, v21
	v_add_f32_e32 v47, v47, v51
	v_fma_f32 v51, v28, s6, -v7
	v_mul_f32_e32 v21, 0x3eedf032, v21
	v_fmac_f32_e32 v7, 0x3f62ad3f, v28
	v_add_f32_e32 v7, v7, v8
	v_fma_f32 v8, v29, s6, -v21
	v_add_f32_e32 v8, v8, v22
	v_add_f32_e32 v22, v9, v14
	v_sub_f32_e32 v9, v9, v14
	v_add_f32_e32 v48, v48, v52
	v_mov_b32_e32 v52, v21
	v_add_f32_e32 v21, v10, v20
	v_mul_f32_e32 v14, 0xbf7e222b, v9
	v_sub_f32_e32 v10, v10, v20
	v_fma_f32 v20, v21, s4, -v14
	v_add_f32_e32 v20, v20, v25
	v_mul_f32_e32 v25, 0xbf7e222b, v10
	v_fmac_f32_e32 v14, 0x3df6dbef, v21
	v_add_f32_e32 v14, v14, v16
	v_fma_f32 v16, v22, s4, -v25
	v_fmac_f32_e32 v46, 0xbf3f9e67, v29
	v_add_f32_e32 v16, v16, v23
	v_mul_f32_e32 v23, 0xbe750f2a, v9
	v_add_f32_e32 v46, v46, v50
	v_mov_b32_e32 v50, v49
	v_mov_b32_e32 v28, v25
	v_fma_f32 v25, v21, s9, -v23
	v_fmac_f32_e32 v23, 0xbf788fa5, v21
	v_fmac_f32_e32 v50, 0x3df6dbef, v29
	v_fma_f32 v49, v29, s4, -v49
	v_fmac_f32_e32 v52, 0x3f62ad3f, v29
	v_fmac_f32_e32 v28, 0x3df6dbef, v22
	v_mul_f32_e32 v29, 0xbe750f2a, v10
	v_add_f32_e32 v23, v23, v30
	v_mul_f32_e32 v30, 0x3f6f5d39, v9
	v_add_f32_e32 v28, v28, v33
	v_add_f32_e32 v25, v25, v32
	v_mov_b32_e32 v32, v29
	v_fma_f32 v29, v22, s9, -v29
	v_fma_f32 v33, v21, s7, -v30
	v_fmac_f32_e32 v30, 0xbeb58ec6, v21
	v_fmac_f32_e32 v32, 0xbf788fa5, v22
	v_add_f32_e32 v29, v29, v34
	v_mul_f32_e32 v34, 0x3f6f5d39, v10
	v_add_f32_e32 v30, v30, v39
	v_mul_f32_e32 v39, 0x3eedf032, v9
	v_add_f32_e32 v32, v32, v37
	v_add_f32_e32 v33, v33, v40
	v_mov_b32_e32 v37, v34
	v_fma_f32 v34, v22, s7, -v34
	v_fma_f32 v40, v21, s6, -v39
	v_fmac_f32_e32 v39, 0x3f62ad3f, v21
	v_fmac_f32_e32 v37, 0xbeb58ec6, v22
	v_add_f32_e32 v34, v34, v41
	v_mul_f32_e32 v41, 0x3eedf032, v10
	v_add_f32_e32 v39, v39, v43
	v_mul_f32_e32 v43, 0xbf52af12, v9
	v_add_f32_e32 v37, v37, v42
	v_add_f32_e32 v40, v40, v44
	v_mov_b32_e32 v42, v41
	v_fma_f32 v41, v22, s6, -v41
	v_fma_f32 v44, v21, s5, -v43
	v_fmac_f32_e32 v43, 0x3f116cb1, v21
	v_mul_f32_e32 v9, 0xbf29c268, v9
	v_add_f32_e32 v41, v41, v45
	v_mul_f32_e32 v45, 0xbf52af12, v10
	v_add_f32_e32 v43, v43, v47
	v_fma_f32 v47, v21, s8, -v9
	v_mul_f32_e32 v10, 0xbf29c268, v10
	v_fmac_f32_e32 v9, 0xbf3f9e67, v21
	v_add_f32_e32 v44, v44, v48
	v_mov_b32_e32 v48, v10
	v_add_f32_e32 v7, v9, v7
	v_fma_f32 v9, v22, s8, -v10
	v_add_f32_e32 v10, v11, v12
	v_sub_f32_e32 v11, v11, v12
	v_add_f32_e32 v8, v9, v8
	v_add_f32_e32 v9, v53, v18
	v_mul_f32_e32 v12, 0xbf6f5d39, v11
	v_sub_f32_e32 v18, v53, v18
	v_fma_f32 v21, v9, s7, -v12
	v_add_f32_e32 v20, v21, v20
	v_mul_f32_e32 v21, 0xbf6f5d39, v18
	v_fmac_f32_e32 v12, 0xbeb58ec6, v9
	v_fmac_f32_e32 v42, 0x3f62ad3f, v22
	v_add_f32_e32 v12, v12, v14
	v_fma_f32 v14, v10, s7, -v21
	v_add_f32_e32 v42, v42, v46
	v_mov_b32_e32 v46, v45
	v_add_f32_e32 v14, v14, v16
	v_mul_f32_e32 v16, 0x3f29c268, v11
	v_fmac_f32_e32 v46, 0x3f116cb1, v22
	v_fma_f32 v45, v22, s5, -v45
	v_fmac_f32_e32 v48, 0xbf3f9e67, v22
	v_mov_b32_e32 v22, v21
	v_fma_f32 v21, v9, s8, -v16
	v_fmac_f32_e32 v22, 0xbeb58ec6, v10
	v_add_f32_e32 v21, v21, v25
	v_mul_f32_e32 v25, 0x3f29c268, v18
	v_add_f32_e32 v22, v22, v28
	v_mov_b32_e32 v28, v25
	v_fmac_f32_e32 v16, 0xbf3f9e67, v9
	v_fmac_f32_e32 v28, 0xbf3f9e67, v10
	v_add_f32_e32 v16, v16, v23
	v_fma_f32 v23, v10, s8, -v25
	v_mul_f32_e32 v25, 0x3eedf032, v11
	v_add_f32_e32 v28, v28, v32
	v_add_f32_e32 v23, v23, v29
	v_fma_f32 v29, v9, s6, -v25
	v_mul_f32_e32 v32, 0x3eedf032, v18
	v_add_f32_e32 v29, v29, v33
	v_mov_b32_e32 v33, v32
	v_fmac_f32_e32 v25, 0x3f62ad3f, v9
	v_fmac_f32_e32 v33, 0x3f62ad3f, v10
	v_add_f32_e32 v25, v25, v30
	v_fma_f32 v30, v10, s6, -v32
	v_mul_f32_e32 v32, 0xbf7e222b, v11
	v_add_f32_e32 v33, v33, v37
	v_add_f32_e32 v30, v30, v34
	v_fma_f32 v34, v9, s4, -v32
	v_mul_f32_e32 v37, 0xbf7e222b, v18
	v_add_f32_e32 v34, v34, v40
	v_mov_b32_e32 v40, v37
	v_fmac_f32_e32 v32, 0x3df6dbef, v9
	v_fmac_f32_e32 v40, 0x3df6dbef, v10
	v_add_f32_e32 v32, v32, v39
	v_fma_f32 v37, v10, s4, -v37
	v_mul_f32_e32 v39, 0x3e750f2a, v11
	v_add_f32_e32 v49, v49, v54
	v_add_f32_e32 v40, v40, v42
	;; [unrolled: 1-line block ×3, first 2 shown]
	v_fma_f32 v41, v9, s9, -v39
	v_mul_f32_e32 v42, 0x3e750f2a, v18
	v_add_f32_e32 v45, v45, v49
	v_add_f32_e32 v41, v41, v44
	v_mov_b32_e32 v44, v42
	v_fma_f32 v42, v10, s9, -v42
	v_mul_f32_e32 v18, 0x3f52af12, v18
	v_fmac_f32_e32 v39, 0xbf788fa5, v9
	v_add_f32_e32 v42, v42, v45
	v_mul_f32_e32 v11, 0x3f52af12, v11
	v_mov_b32_e32 v45, v18
	v_fmac_f32_e32 v44, 0xbf788fa5, v10
	v_add_f32_e32 v39, v39, v43
	v_fma_f32 v43, v9, s5, -v11
	v_fmac_f32_e32 v45, 0x3f116cb1, v10
	v_fmac_f32_e32 v11, 0x3f116cb1, v9
	v_fma_f32 v9, v10, s5, -v18
	v_add_f32_e32 v10, v6, v19
	v_sub_f32_e32 v6, v6, v19
	v_add_f32_e32 v8, v9, v8
	v_add_f32_e32 v9, v35, v31
	v_mul_f32_e32 v18, 0xbf29c268, v6
	v_add_f32_e32 v7, v11, v7
	v_sub_f32_e32 v11, v35, v31
	v_fma_f32 v19, v9, s8, -v18
	v_add_f32_e32 v19, v19, v20
	v_mul_f32_e32 v20, 0xbf29c268, v11
	v_fmac_f32_e32 v18, 0xbf3f9e67, v9
	v_add_f32_e32 v12, v18, v12
	v_fma_f32 v18, v10, s8, -v20
	v_add_f32_e32 v14, v18, v14
	v_mul_f32_e32 v18, 0x3f7e222b, v6
	v_mov_b32_e32 v31, v20
	v_fma_f32 v20, v9, s4, -v18
	v_fmac_f32_e32 v31, 0xbf3f9e67, v10
	v_add_f32_e32 v20, v20, v21
	v_mul_f32_e32 v21, 0x3f7e222b, v11
	v_fmac_f32_e32 v18, 0x3df6dbef, v9
	v_add_f32_e32 v22, v31, v22
	v_mov_b32_e32 v31, v21
	v_add_f32_e32 v16, v18, v16
	v_fma_f32 v18, v10, s4, -v21
	v_mul_f32_e32 v21, 0xbf52af12, v6
	v_add_f32_e32 v18, v18, v23
	v_fma_f32 v23, v9, s5, -v21
	v_fmac_f32_e32 v31, 0x3df6dbef, v10
	v_add_f32_e32 v23, v23, v29
	v_mul_f32_e32 v29, 0xbf52af12, v11
	v_add_f32_e32 v28, v31, v28
	v_mov_b32_e32 v31, v29
	v_fmac_f32_e32 v21, 0x3f116cb1, v9
	v_fmac_f32_e32 v31, 0x3f116cb1, v10
	v_add_f32_e32 v21, v21, v25
	v_fma_f32 v25, v10, s5, -v29
	v_mul_f32_e32 v29, 0x3e750f2a, v6
	v_add_f32_e32 v31, v31, v33
	v_add_f32_e32 v25, v25, v30
	v_fma_f32 v30, v9, s9, -v29
	v_mul_f32_e32 v33, 0x3e750f2a, v11
	v_fmac_f32_e32 v29, 0xbf788fa5, v9
	v_add_f32_e32 v30, v30, v34
	v_mov_b32_e32 v34, v33
	v_add_f32_e32 v29, v29, v32
	v_fma_f32 v32, v10, s9, -v33
	v_mul_f32_e32 v33, 0x3eedf032, v6
	v_add_f32_e32 v50, v50, v55
	v_add_f32_e32 v51, v51, v56
	v_fmac_f32_e32 v34, 0xbf788fa5, v10
	v_add_f32_e32 v32, v32, v37
	v_fma_f32 v35, v9, s6, -v33
	v_mul_f32_e32 v37, 0x3eedf032, v11
	v_fmac_f32_e32 v33, 0x3f62ad3f, v9
	v_mul_f32_e32 v6, 0xbf6f5d39, v6
	v_add_f32_e32 v46, v46, v50
	v_add_f32_e32 v47, v47, v51
	;; [unrolled: 1-line block ×3, first 2 shown]
	v_mov_b32_e32 v40, v37
	v_add_f32_e32 v33, v33, v39
	v_fma_f32 v37, v10, s6, -v37
	v_fma_f32 v39, v9, s7, -v6
	v_mul_f32_e32 v11, 0xbf6f5d39, v11
	v_fmac_f32_e32 v6, 0xbeb58ec6, v9
	v_add_f32_e32 v44, v44, v46
	v_add_f32_e32 v43, v43, v47
	v_fmac_f32_e32 v40, 0x3f62ad3f, v10
	v_add_f32_e32 v37, v37, v42
	v_add_f32_e32 v42, v6, v7
	v_fma_f32 v6, v10, s7, -v11
	v_sub_f32_e32 v46, v13, v17
	v_add_f32_e32 v52, v52, v57
	v_add_f32_e32 v40, v40, v44
	;; [unrolled: 1-line block ×5, first 2 shown]
	v_mul_f32_e32 v8, 0xbe750f2a, v46
	v_add_f32_e32 v48, v48, v52
	v_add_f32_e32 v35, v35, v41
	v_mov_b32_e32 v41, v11
	v_fma_f32 v6, v44, s9, -v8
	v_fmac_f32_e32 v8, 0xbf788fa5, v44
	v_add_f32_e32 v45, v45, v48
	v_fmac_f32_e32 v41, 0xbeb58ec6, v10
	v_sub_f32_e32 v38, v38, v15
	v_add_f32_e32 v8, v8, v12
	v_mul_f32_e32 v12, 0x3eedf032, v46
	v_add_f32_e32 v41, v41, v45
	v_add_f32_e32 v45, v13, v17
	v_mul_f32_e32 v9, 0xbe750f2a, v38
	v_fma_f32 v10, v44, s6, -v12
	v_mul_f32_e32 v13, 0x3eedf032, v38
	v_mul_f32_e32 v17, 0xbf29c268, v38
	v_mov_b32_e32 v7, v9
	v_add_f32_e32 v10, v10, v20
	v_mov_b32_e32 v11, v13
	v_fmac_f32_e32 v12, 0x3f62ad3f, v44
	v_fma_f32 v13, v45, s6, -v13
	v_mov_b32_e32 v15, v17
	v_fma_f32 v17, v45, s8, -v17
	v_mul_f32_e32 v20, 0x3f52af12, v46
	v_fmac_f32_e32 v7, 0xbf788fa5, v45
	v_fma_f32 v9, v45, s9, -v9
	v_add_f32_e32 v12, v12, v16
	v_add_f32_e32 v13, v13, v18
	v_mul_f32_e32 v16, 0xbf29c268, v46
	v_add_f32_e32 v17, v17, v25
	v_fma_f32 v18, v44, s5, -v20
	v_fmac_f32_e32 v20, 0x3f116cb1, v44
	v_mul_f32_e32 v25, 0xbf6f5d39, v46
	v_add_f32_e32 v7, v7, v22
	v_add_f32_e32 v9, v9, v14
	v_fmac_f32_e32 v11, 0x3f62ad3f, v45
	v_fma_f32 v14, v44, s8, -v16
	v_fmac_f32_e32 v16, 0xbf3f9e67, v44
	v_add_f32_e32 v20, v20, v29
	v_fma_f32 v22, v44, s7, -v25
	v_mul_f32_e32 v29, 0xbf6f5d39, v38
	v_fmac_f32_e32 v25, 0xbeb58ec6, v44
	v_add_f32_e32 v11, v11, v28
	v_add_f32_e32 v16, v16, v21
	v_mul_f32_e32 v21, 0x3f52af12, v38
	v_add_f32_e32 v28, v25, v33
	v_fma_f32 v25, v45, s7, -v29
	v_add_f32_e32 v6, v6, v19
	v_add_f32_e32 v14, v14, v23
	v_fmac_f32_e32 v15, 0xbf3f9e67, v45
	v_mov_b32_e32 v19, v21
	v_mov_b32_e32 v23, v29
	v_add_f32_e32 v29, v25, v37
	v_mul_f32_e32 v25, 0x3f7e222b, v46
	v_mul_f32_e32 v33, 0x3f7e222b, v38
	v_add_f32_e32 v15, v15, v31
	v_add_f32_e32 v18, v18, v30
	v_fmac_f32_e32 v19, 0x3f116cb1, v45
	v_fma_f32 v21, v45, s5, -v21
	v_fmac_f32_e32 v23, 0xbeb58ec6, v45
	v_fma_f32 v30, v44, s4, -v25
	v_mov_b32_e32 v31, v33
	v_fmac_f32_e32 v25, 0x3df6dbef, v44
	v_add_f32_e32 v19, v19, v34
	v_add_f32_e32 v21, v21, v32
	;; [unrolled: 1-line block ×4, first 2 shown]
	v_fmac_f32_e32 v31, 0x3df6dbef, v45
	v_add_f32_e32 v32, v25, v42
	v_fma_f32 v25, v45, s4, -v33
	ds_write2_b64 v36, v[4:5], v[6:7] offset1:156
	ds_write2_b64 v3, v[10:11], v[14:15] offset0:56 offset1:212
	v_add_u32_e32 v3, 0x1200, v36
	v_add_f32_e32 v30, v30, v39
	v_add_f32_e32 v31, v31, v41
	;; [unrolled: 1-line block ×3, first 2 shown]
	ds_write2_b64 v3, v[18:19], v[22:23] offset0:48 offset1:204
	ds_write2_b64 v2, v[30:31], v[32:33] offset0:40 offset1:196
	;; [unrolled: 1-line block ×4, first 2 shown]
	ds_write_b64 v36, v[8:9] offset:14976
	s_waitcnt lgkmcnt(0)
	s_barrier
	s_and_saveexec_b64 s[4:5], s[0:1]
	s_cbranch_execz .LBB0_29
; %bb.28:
	v_lshl_add_u32 v6, v24, 3, 0
	v_mov_b32_e32 v25, 0
	ds_read2_b64 v[0:3], v6 offset1:156
	v_mov_b32_e32 v4, s3
	v_add_co_u32_e32 v7, vcc, s2, v26
	v_addc_co_u32_e32 v8, vcc, v4, v27, vcc
	v_lshlrev_b64 v[4:5], 3, v[24:25]
	v_add_co_u32_e32 v4, vcc, v7, v4
	v_addc_co_u32_e32 v5, vcc, v8, v5, vcc
	s_waitcnt lgkmcnt(0)
	global_store_dwordx2 v[4:5], v[0:1], off
	v_add_u32_e32 v0, 0x9c, v24
	v_mov_b32_e32 v1, v25
	v_lshlrev_b64 v[0:1], 3, v[0:1]
	v_add_u32_e32 v4, 0x138, v24
	v_add_co_u32_e32 v0, vcc, v7, v0
	v_addc_co_u32_e32 v1, vcc, v8, v1, vcc
	global_store_dwordx2 v[0:1], v[2:3], off
	v_add_u32_e32 v0, 0x800, v6
	v_mov_b32_e32 v5, v25
	ds_read2_b64 v[0:3], v0 offset0:56 offset1:212
	v_lshlrev_b64 v[4:5], 3, v[4:5]
	v_add_co_u32_e32 v4, vcc, v7, v4
	v_addc_co_u32_e32 v5, vcc, v8, v5, vcc
	s_waitcnt lgkmcnt(0)
	global_store_dwordx2 v[4:5], v[0:1], off
	v_add_u32_e32 v0, 0x1d4, v24
	v_mov_b32_e32 v1, v25
	v_lshlrev_b64 v[0:1], 3, v[0:1]
	v_add_u32_e32 v4, 0x270, v24
	v_add_co_u32_e32 v0, vcc, v7, v0
	v_addc_co_u32_e32 v1, vcc, v8, v1, vcc
	global_store_dwordx2 v[0:1], v[2:3], off
	v_add_u32_e32 v0, 0x1200, v6
	v_mov_b32_e32 v5, v25
	ds_read2_b64 v[0:3], v0 offset0:48 offset1:204
	;; [unrolled: 15-line block ×5, first 2 shown]
	v_lshlrev_b64 v[4:5], 3, v[4:5]
	v_add_co_u32_e32 v4, vcc, v7, v4
	v_addc_co_u32_e32 v5, vcc, v8, v5, vcc
	s_waitcnt lgkmcnt(0)
	global_store_dwordx2 v[4:5], v[0:1], off
	v_add_u32_e32 v0, 0x6b4, v24
	v_mov_b32_e32 v1, v25
	v_lshlrev_b64 v[0:1], 3, v[0:1]
	v_add_u32_e32 v24, 0x750, v24
	v_add_co_u32_e32 v0, vcc, v7, v0
	v_addc_co_u32_e32 v1, vcc, v8, v1, vcc
	global_store_dwordx2 v[0:1], v[2:3], off
	ds_read_b64 v[0:1], v6 offset:14976
	v_lshlrev_b64 v[2:3], 3, v[24:25]
	v_add_co_u32_e32 v2, vcc, v7, v2
	v_addc_co_u32_e32 v3, vcc, v8, v3, vcc
	s_waitcnt lgkmcnt(0)
	global_store_dwordx2 v[2:3], v[0:1], off
.LBB0_29:
	s_endpgm
	.section	.rodata,"a",@progbits
	.p2align	6, 0x0
	.amdhsa_kernel fft_rtc_fwd_len2028_factors_13_4_3_13_wgs_156_tpt_156_sp_ip_CI_unitstride_sbrr_C2R_dirReg
		.amdhsa_group_segment_fixed_size 0
		.amdhsa_private_segment_fixed_size 0
		.amdhsa_kernarg_size 88
		.amdhsa_user_sgpr_count 6
		.amdhsa_user_sgpr_private_segment_buffer 1
		.amdhsa_user_sgpr_dispatch_ptr 0
		.amdhsa_user_sgpr_queue_ptr 0
		.amdhsa_user_sgpr_kernarg_segment_ptr 1
		.amdhsa_user_sgpr_dispatch_id 0
		.amdhsa_user_sgpr_flat_scratch_init 0
		.amdhsa_user_sgpr_private_segment_size 0
		.amdhsa_uses_dynamic_stack 0
		.amdhsa_system_sgpr_private_segment_wavefront_offset 0
		.amdhsa_system_sgpr_workgroup_id_x 1
		.amdhsa_system_sgpr_workgroup_id_y 0
		.amdhsa_system_sgpr_workgroup_id_z 0
		.amdhsa_system_sgpr_workgroup_info 0
		.amdhsa_system_vgpr_workitem_id 0
		.amdhsa_next_free_vgpr 65
		.amdhsa_next_free_sgpr 22
		.amdhsa_reserve_vcc 1
		.amdhsa_reserve_flat_scratch 0
		.amdhsa_float_round_mode_32 0
		.amdhsa_float_round_mode_16_64 0
		.amdhsa_float_denorm_mode_32 3
		.amdhsa_float_denorm_mode_16_64 3
		.amdhsa_dx10_clamp 1
		.amdhsa_ieee_mode 1
		.amdhsa_fp16_overflow 0
		.amdhsa_exception_fp_ieee_invalid_op 0
		.amdhsa_exception_fp_denorm_src 0
		.amdhsa_exception_fp_ieee_div_zero 0
		.amdhsa_exception_fp_ieee_overflow 0
		.amdhsa_exception_fp_ieee_underflow 0
		.amdhsa_exception_fp_ieee_inexact 0
		.amdhsa_exception_int_div_zero 0
	.end_amdhsa_kernel
	.text
.Lfunc_end0:
	.size	fft_rtc_fwd_len2028_factors_13_4_3_13_wgs_156_tpt_156_sp_ip_CI_unitstride_sbrr_C2R_dirReg, .Lfunc_end0-fft_rtc_fwd_len2028_factors_13_4_3_13_wgs_156_tpt_156_sp_ip_CI_unitstride_sbrr_C2R_dirReg
                                        ; -- End function
	.section	.AMDGPU.csdata,"",@progbits
; Kernel info:
; codeLenInByte = 11536
; NumSgprs: 26
; NumVgprs: 65
; ScratchSize: 0
; MemoryBound: 0
; FloatMode: 240
; IeeeMode: 1
; LDSByteSize: 0 bytes/workgroup (compile time only)
; SGPRBlocks: 3
; VGPRBlocks: 16
; NumSGPRsForWavesPerEU: 26
; NumVGPRsForWavesPerEU: 65
; Occupancy: 3
; WaveLimiterHint : 1
; COMPUTE_PGM_RSRC2:SCRATCH_EN: 0
; COMPUTE_PGM_RSRC2:USER_SGPR: 6
; COMPUTE_PGM_RSRC2:TRAP_HANDLER: 0
; COMPUTE_PGM_RSRC2:TGID_X_EN: 1
; COMPUTE_PGM_RSRC2:TGID_Y_EN: 0
; COMPUTE_PGM_RSRC2:TGID_Z_EN: 0
; COMPUTE_PGM_RSRC2:TIDIG_COMP_CNT: 0
	.type	__hip_cuid_3abca9e2d5915a03,@object ; @__hip_cuid_3abca9e2d5915a03
	.section	.bss,"aw",@nobits
	.globl	__hip_cuid_3abca9e2d5915a03
__hip_cuid_3abca9e2d5915a03:
	.byte	0                               ; 0x0
	.size	__hip_cuid_3abca9e2d5915a03, 1

	.ident	"AMD clang version 19.0.0git (https://github.com/RadeonOpenCompute/llvm-project roc-6.4.0 25133 c7fe45cf4b819c5991fe208aaa96edf142730f1d)"
	.section	".note.GNU-stack","",@progbits
	.addrsig
	.addrsig_sym __hip_cuid_3abca9e2d5915a03
	.amdgpu_metadata
---
amdhsa.kernels:
  - .args:
      - .actual_access:  read_only
        .address_space:  global
        .offset:         0
        .size:           8
        .value_kind:     global_buffer
      - .offset:         8
        .size:           8
        .value_kind:     by_value
      - .actual_access:  read_only
        .address_space:  global
        .offset:         16
        .size:           8
        .value_kind:     global_buffer
      - .actual_access:  read_only
        .address_space:  global
        .offset:         24
        .size:           8
        .value_kind:     global_buffer
      - .offset:         32
        .size:           8
        .value_kind:     by_value
      - .actual_access:  read_only
        .address_space:  global
        .offset:         40
        .size:           8
        .value_kind:     global_buffer
      - .actual_access:  read_only
        .address_space:  global
        .offset:         48
        .size:           8
        .value_kind:     global_buffer
      - .offset:         56
        .size:           4
        .value_kind:     by_value
      - .actual_access:  read_only
        .address_space:  global
        .offset:         64
        .size:           8
        .value_kind:     global_buffer
      - .actual_access:  read_only
        .address_space:  global
        .offset:         72
        .size:           8
        .value_kind:     global_buffer
      - .address_space:  global
        .offset:         80
        .size:           8
        .value_kind:     global_buffer
    .group_segment_fixed_size: 0
    .kernarg_segment_align: 8
    .kernarg_segment_size: 88
    .language:       OpenCL C
    .language_version:
      - 2
      - 0
    .max_flat_workgroup_size: 156
    .name:           fft_rtc_fwd_len2028_factors_13_4_3_13_wgs_156_tpt_156_sp_ip_CI_unitstride_sbrr_C2R_dirReg
    .private_segment_fixed_size: 0
    .sgpr_count:     26
    .sgpr_spill_count: 0
    .symbol:         fft_rtc_fwd_len2028_factors_13_4_3_13_wgs_156_tpt_156_sp_ip_CI_unitstride_sbrr_C2R_dirReg.kd
    .uniform_work_group_size: 1
    .uses_dynamic_stack: false
    .vgpr_count:     65
    .vgpr_spill_count: 0
    .wavefront_size: 64
amdhsa.target:   amdgcn-amd-amdhsa--gfx906
amdhsa.version:
  - 1
  - 2
...

	.end_amdgpu_metadata
